;; amdgpu-corpus repo=ROCm/rocBLAS kind=compiled arch=gfx950 opt=O3
	.amdgcn_target "amdgcn-amd-amdhsa--gfx950"
	.amdhsa_code_object_version 6
	.section	.text._ZL27rocblas_rotm_kernel_batchedILi512EPfPKfEviT0_lllS3_lllT1_lli,"axG",@progbits,_ZL27rocblas_rotm_kernel_batchedILi512EPfPKfEviT0_lllS3_lllT1_lli,comdat
	.globl	_ZL27rocblas_rotm_kernel_batchedILi512EPfPKfEviT0_lllS3_lllT1_lli ; -- Begin function _ZL27rocblas_rotm_kernel_batchedILi512EPfPKfEviT0_lllS3_lllT1_lli
	.p2align	8
	.type	_ZL27rocblas_rotm_kernel_batchedILi512EPfPKfEviT0_lllS3_lllT1_lli,@function
_ZL27rocblas_rotm_kernel_batchedILi512EPfPKfEviT0_lllS3_lllT1_lli: ; @_ZL27rocblas_rotm_kernel_batchedILi512EPfPKfEviT0_lllS3_lllT1_lli
; %bb.0:
	s_load_dword s8, s[0:1], 0x0
	s_load_dwordx2 s[10:11], s[0:1], 0x58
	s_load_dwordx4 s[4:7], s[0:1], 0x48
	s_load_dword s12, s[0:1], 0x74
	v_mov_b32_e32 v1, 0
	s_waitcnt lgkmcnt(0)
	s_ashr_i32 s9, s8, 31
	s_mul_i32 s11, s11, s3
	s_mul_hi_u32 s13, s10, s3
	s_add_i32 s11, s13, s11
	s_mul_i32 s10, s10, s3
	s_lshl_b64 s[10:11], s[10:11], 2
	s_add_u32 s10, s4, s10
	s_addc_u32 s11, s5, s11
	s_lshl_b64 s[4:5], s[6:7], 2
	s_add_u32 s24, s10, s4
	s_addc_u32 s25, s11, s5
	s_load_dwordx4 s[20:23], s[24:25], 0x0
	s_and_b32 s4, s12, 0xffff
	s_mul_i32 s2, s2, s4
	v_add_u32_e32 v0, s2, v0
	v_cmp_gt_i64_e32 vcc, s[8:9], v[0:1]
	s_waitcnt lgkmcnt(0)
	v_cmp_neq_f32_e64 s[4:5], s20, -2.0
	s_and_b64 s[4:5], s[4:5], vcc
	s_and_saveexec_b64 s[6:7], s[4:5]
	s_cbranch_execz .LBB0_9
; %bb.1:
	s_load_dwordx16 s[4:19], s[0:1], 0x8
	s_waitcnt lgkmcnt(0)
	s_mul_i32 s1, s19, s3
	s_mul_hi_u32 s2, s18, s3
	s_mul_i32 s0, s18, s3
	s_add_i32 s1, s2, s1
	s_lshl_b64 s[0:1], s[0:1], 2
	s_add_u32 s2, s12, s0
	s_addc_u32 s12, s13, s1
	s_lshl_b64 s[0:1], s[14:15], 2
	s_mul_i32 s11, s11, s3
	s_add_u32 s0, s2, s0
	s_mul_hi_u32 s2, s10, s3
	s_addc_u32 s1, s12, s1
	s_add_i32 s11, s2, s11
	s_mul_i32 s10, s10, s3
	s_lshl_b64 s[2:3], s[10:11], 2
	s_add_u32 s4, s4, s2
	s_addc_u32 s5, s5, s3
	s_lshl_b64 s[2:3], s[6:7], 2
	s_add_u32 s2, s4, s2
	s_addc_u32 s3, s5, s3
	v_mad_u64_u32 v[2:3], s[4:5], s8, v0, 0
	v_mov_b32_e32 v4, v3
	v_mad_u64_u32 v[4:5], s[4:5], s9, v0, v[4:5]
	v_mad_u64_u32 v[6:7], s[4:5], s16, v0, 0
	v_mov_b32_e32 v3, v4
	v_mov_b32_e32 v4, v7
	v_mad_u64_u32 v[0:1], s[4:5], s17, v0, v[4:5]
	v_mov_b32_e32 v7, v0
	v_lshl_add_u64 v[4:5], v[2:3], 2, s[2:3]
	v_lshl_add_u64 v[0:1], v[6:7], 2, s[0:1]
	global_load_dword v2, v[4:5], off
	global_load_dword v3, v[0:1], off
	s_load_dword s2, s[24:25], 0x10
	v_cmp_nlt_f32_e64 s[0:1], s20, 0
	s_and_b64 vcc, exec, s[0:1]
	s_cbranch_vccz .LBB0_6
; %bb.2:
	v_cmp_neq_f32_e64 s[0:1], s20, 0
	s_and_b64 vcc, exec, s[0:1]
	s_cbranch_vccz .LBB0_10
; %bb.3:
	s_waitcnt vmcnt(0)
	v_fma_f32 v6, s21, v2, v3
	global_store_dword v[4:5], v6, off
	s_waitcnt lgkmcnt(0)
	v_fma_f32 v6, s2, v3, -v2
	s_cbranch_execnz .LBB0_5
.LBB0_4:
	s_waitcnt vmcnt(0)
	v_fma_f32 v6, s23, v3, v2
	global_store_dword v[4:5], v6, off
	v_fma_f32 v6, s22, v2, v3
.LBB0_5:
	s_cbranch_execz .LBB0_7
	s_branch .LBB0_8
.LBB0_6:
                                        ; implicit-def: $vgpr6
.LBB0_7:
	s_mov_b32 s0, s21
	s_mov_b32 s1, s23
	s_waitcnt vmcnt(0)
	v_pk_mul_f32 v[6:7], s[0:1], v[2:3]
	s_waitcnt lgkmcnt(0)
	s_mov_b32 s23, s2
	v_add_f32_e32 v6, v6, v7
	v_pk_mul_f32 v[2:3], s[22:23], v[2:3]
	global_store_dword v[4:5], v6, off
	v_add_f32_e32 v6, v2, v3
.LBB0_8:
	global_store_dword v[0:1], v6, off
.LBB0_9:
	s_endpgm
.LBB0_10:
                                        ; implicit-def: $vgpr6
	s_branch .LBB0_4
	.section	.rodata,"a",@progbits
	.p2align	6, 0x0
	.amdhsa_kernel _ZL27rocblas_rotm_kernel_batchedILi512EPfPKfEviT0_lllS3_lllT1_lli
		.amdhsa_group_segment_fixed_size 0
		.amdhsa_private_segment_fixed_size 0
		.amdhsa_kernarg_size 360
		.amdhsa_user_sgpr_count 2
		.amdhsa_user_sgpr_dispatch_ptr 0
		.amdhsa_user_sgpr_queue_ptr 0
		.amdhsa_user_sgpr_kernarg_segment_ptr 1
		.amdhsa_user_sgpr_dispatch_id 0
		.amdhsa_user_sgpr_kernarg_preload_length 0
		.amdhsa_user_sgpr_kernarg_preload_offset 0
		.amdhsa_user_sgpr_private_segment_size 0
		.amdhsa_uses_dynamic_stack 0
		.amdhsa_enable_private_segment 0
		.amdhsa_system_sgpr_workgroup_id_x 1
		.amdhsa_system_sgpr_workgroup_id_y 0
		.amdhsa_system_sgpr_workgroup_id_z 1
		.amdhsa_system_sgpr_workgroup_info 0
		.amdhsa_system_vgpr_workitem_id 0
		.amdhsa_next_free_vgpr 8
		.amdhsa_next_free_sgpr 26
		.amdhsa_accum_offset 8
		.amdhsa_reserve_vcc 1
		.amdhsa_float_round_mode_32 0
		.amdhsa_float_round_mode_16_64 0
		.amdhsa_float_denorm_mode_32 3
		.amdhsa_float_denorm_mode_16_64 3
		.amdhsa_dx10_clamp 1
		.amdhsa_ieee_mode 1
		.amdhsa_fp16_overflow 0
		.amdhsa_tg_split 0
		.amdhsa_exception_fp_ieee_invalid_op 0
		.amdhsa_exception_fp_denorm_src 0
		.amdhsa_exception_fp_ieee_div_zero 0
		.amdhsa_exception_fp_ieee_overflow 0
		.amdhsa_exception_fp_ieee_underflow 0
		.amdhsa_exception_fp_ieee_inexact 0
		.amdhsa_exception_int_div_zero 0
	.end_amdhsa_kernel
	.section	.text._ZL27rocblas_rotm_kernel_batchedILi512EPfPKfEviT0_lllS3_lllT1_lli,"axG",@progbits,_ZL27rocblas_rotm_kernel_batchedILi512EPfPKfEviT0_lllS3_lllT1_lli,comdat
.Lfunc_end0:
	.size	_ZL27rocblas_rotm_kernel_batchedILi512EPfPKfEviT0_lllS3_lllT1_lli, .Lfunc_end0-_ZL27rocblas_rotm_kernel_batchedILi512EPfPKfEviT0_lllS3_lllT1_lli
                                        ; -- End function
	.set _ZL27rocblas_rotm_kernel_batchedILi512EPfPKfEviT0_lllS3_lllT1_lli.num_vgpr, 8
	.set _ZL27rocblas_rotm_kernel_batchedILi512EPfPKfEviT0_lllS3_lllT1_lli.num_agpr, 0
	.set _ZL27rocblas_rotm_kernel_batchedILi512EPfPKfEviT0_lllS3_lllT1_lli.numbered_sgpr, 26
	.set _ZL27rocblas_rotm_kernel_batchedILi512EPfPKfEviT0_lllS3_lllT1_lli.num_named_barrier, 0
	.set _ZL27rocblas_rotm_kernel_batchedILi512EPfPKfEviT0_lllS3_lllT1_lli.private_seg_size, 0
	.set _ZL27rocblas_rotm_kernel_batchedILi512EPfPKfEviT0_lllS3_lllT1_lli.uses_vcc, 1
	.set _ZL27rocblas_rotm_kernel_batchedILi512EPfPKfEviT0_lllS3_lllT1_lli.uses_flat_scratch, 0
	.set _ZL27rocblas_rotm_kernel_batchedILi512EPfPKfEviT0_lllS3_lllT1_lli.has_dyn_sized_stack, 0
	.set _ZL27rocblas_rotm_kernel_batchedILi512EPfPKfEviT0_lllS3_lllT1_lli.has_recursion, 0
	.set _ZL27rocblas_rotm_kernel_batchedILi512EPfPKfEviT0_lllS3_lllT1_lli.has_indirect_call, 0
	.section	.AMDGPU.csdata,"",@progbits
; Kernel info:
; codeLenInByte = 488
; TotalNumSgprs: 32
; NumVgprs: 8
; NumAgprs: 0
; TotalNumVgprs: 8
; ScratchSize: 0
; MemoryBound: 0
; FloatMode: 240
; IeeeMode: 1
; LDSByteSize: 0 bytes/workgroup (compile time only)
; SGPRBlocks: 3
; VGPRBlocks: 0
; NumSGPRsForWavesPerEU: 32
; NumVGPRsForWavesPerEU: 8
; AccumOffset: 8
; Occupancy: 8
; WaveLimiterHint : 1
; COMPUTE_PGM_RSRC2:SCRATCH_EN: 0
; COMPUTE_PGM_RSRC2:USER_SGPR: 2
; COMPUTE_PGM_RSRC2:TRAP_HANDLER: 0
; COMPUTE_PGM_RSRC2:TGID_X_EN: 1
; COMPUTE_PGM_RSRC2:TGID_Y_EN: 0
; COMPUTE_PGM_RSRC2:TGID_Z_EN: 1
; COMPUTE_PGM_RSRC2:TIDIG_COMP_CNT: 0
; COMPUTE_PGM_RSRC3_GFX90A:ACCUM_OFFSET: 1
; COMPUTE_PGM_RSRC3_GFX90A:TG_SPLIT: 0
	.section	.text._ZL27rocblas_rotm_kernel_regularILi512EffEviPT0_lllS1_lllT1_S2_S2_S2_S2_,"axG",@progbits,_ZL27rocblas_rotm_kernel_regularILi512EffEviPT0_lllS1_lllT1_S2_S2_S2_S2_,comdat
	.globl	_ZL27rocblas_rotm_kernel_regularILi512EffEviPT0_lllS1_lllT1_S2_S2_S2_S2_ ; -- Begin function _ZL27rocblas_rotm_kernel_regularILi512EffEviPT0_lllS1_lllT1_S2_S2_S2_S2_
	.p2align	8
	.type	_ZL27rocblas_rotm_kernel_regularILi512EffEviPT0_lllS1_lllT1_S2_S2_S2_S2_,@function
_ZL27rocblas_rotm_kernel_regularILi512EffEviPT0_lllS1_lllT1_S2_S2_S2_S2_: ; @_ZL27rocblas_rotm_kernel_regularILi512EffEviPT0_lllS1_lllT1_S2_S2_S2_S2_
; %bb.0:
	s_load_dword s8, s[0:1], 0x0
	s_load_dword s3, s[0:1], 0x6c
	s_load_dwordx4 s[4:7], s[0:1], 0x48
	v_mov_b32_e32 v1, 0
	s_waitcnt lgkmcnt(0)
	s_ashr_i32 s9, s8, 31
	s_and_b32 s3, s3, 0xffff
	s_mul_i32 s2, s2, s3
	v_add_u32_e32 v0, s2, v0
	v_cmp_gt_i64_e32 vcc, s[8:9], v[0:1]
	v_cmp_neq_f32_e64 s[2:3], s4, -2.0
	s_and_b64 s[2:3], s[2:3], vcc
	s_and_saveexec_b64 s[8:9], s[2:3]
	s_cbranch_execz .LBB1_9
; %bb.1:
	s_load_dwordx4 s[8:11], s[0:1], 0x28
	s_load_dwordx4 s[12:15], s[0:1], 0x8
	s_load_dwordx2 s[2:3], s[0:1], 0x18
	s_load_dwordx2 s[16:17], s[0:1], 0x38
	s_waitcnt lgkmcnt(0)
	s_lshl_b64 s[10:11], s[10:11], 2
	s_add_u32 s8, s8, s10
	s_addc_u32 s9, s9, s11
	s_lshl_b64 s[10:11], s[14:15], 2
	s_add_u32 s10, s12, s10
	s_addc_u32 s11, s13, s11
	v_mad_u64_u32 v[2:3], s[12:13], s2, v0, 0
	v_mov_b32_e32 v4, v3
	v_mad_u64_u32 v[4:5], s[2:3], s3, v0, v[4:5]
	v_mad_u64_u32 v[6:7], s[2:3], s16, v0, 0
	v_mov_b32_e32 v3, v4
	v_mov_b32_e32 v4, v7
	v_mad_u64_u32 v[0:1], s[2:3], s17, v0, v[4:5]
	v_mov_b32_e32 v7, v0
	v_lshl_add_u64 v[4:5], v[2:3], 2, s[10:11]
	v_lshl_add_u64 v[0:1], v[6:7], 2, s[8:9]
	global_load_dword v2, v[4:5], off
	global_load_dword v3, v[0:1], off
	s_load_dword s2, s[0:1], 0x58
	v_cmp_nlt_f32_e64 s[0:1], s4, 0
	s_and_b64 vcc, exec, s[0:1]
	s_cbranch_vccz .LBB1_6
; %bb.2:
	v_cmp_neq_f32_e64 s[0:1], s4, 0
	s_and_b64 vcc, exec, s[0:1]
	s_cbranch_vccz .LBB1_10
; %bb.3:
	s_waitcnt vmcnt(0)
	v_fma_f32 v6, s5, v2, v3
	global_store_dword v[4:5], v6, off
	s_waitcnt lgkmcnt(0)
	v_fma_f32 v6, s2, v3, -v2
	s_cbranch_execnz .LBB1_5
.LBB1_4:
	s_waitcnt vmcnt(0)
	v_fma_f32 v6, s7, v3, v2
	global_store_dword v[4:5], v6, off
	v_fma_f32 v6, s6, v2, v3
.LBB1_5:
	s_cbranch_execz .LBB1_7
	s_branch .LBB1_8
.LBB1_6:
                                        ; implicit-def: $vgpr6
.LBB1_7:
	s_mov_b32 s0, s5
	s_mov_b32 s1, s7
	s_waitcnt vmcnt(0)
	v_pk_mul_f32 v[6:7], s[0:1], v[2:3]
	s_waitcnt lgkmcnt(0)
	s_mov_b32 s7, s2
	v_add_f32_e32 v6, v6, v7
	v_pk_mul_f32 v[2:3], s[6:7], v[2:3]
	global_store_dword v[4:5], v6, off
	v_add_f32_e32 v6, v2, v3
.LBB1_8:
	global_store_dword v[0:1], v6, off
.LBB1_9:
	s_endpgm
.LBB1_10:
                                        ; implicit-def: $vgpr6
	s_branch .LBB1_4
	.section	.rodata,"a",@progbits
	.p2align	6, 0x0
	.amdhsa_kernel _ZL27rocblas_rotm_kernel_regularILi512EffEviPT0_lllS1_lllT1_S2_S2_S2_S2_
		.amdhsa_group_segment_fixed_size 0
		.amdhsa_private_segment_fixed_size 0
		.amdhsa_kernarg_size 352
		.amdhsa_user_sgpr_count 2
		.amdhsa_user_sgpr_dispatch_ptr 0
		.amdhsa_user_sgpr_queue_ptr 0
		.amdhsa_user_sgpr_kernarg_segment_ptr 1
		.amdhsa_user_sgpr_dispatch_id 0
		.amdhsa_user_sgpr_kernarg_preload_length 0
		.amdhsa_user_sgpr_kernarg_preload_offset 0
		.amdhsa_user_sgpr_private_segment_size 0
		.amdhsa_uses_dynamic_stack 0
		.amdhsa_enable_private_segment 0
		.amdhsa_system_sgpr_workgroup_id_x 1
		.amdhsa_system_sgpr_workgroup_id_y 0
		.amdhsa_system_sgpr_workgroup_id_z 0
		.amdhsa_system_sgpr_workgroup_info 0
		.amdhsa_system_vgpr_workitem_id 0
		.amdhsa_next_free_vgpr 8
		.amdhsa_next_free_sgpr 18
		.amdhsa_accum_offset 8
		.amdhsa_reserve_vcc 1
		.amdhsa_float_round_mode_32 0
		.amdhsa_float_round_mode_16_64 0
		.amdhsa_float_denorm_mode_32 3
		.amdhsa_float_denorm_mode_16_64 3
		.amdhsa_dx10_clamp 1
		.amdhsa_ieee_mode 1
		.amdhsa_fp16_overflow 0
		.amdhsa_tg_split 0
		.amdhsa_exception_fp_ieee_invalid_op 0
		.amdhsa_exception_fp_denorm_src 0
		.amdhsa_exception_fp_ieee_div_zero 0
		.amdhsa_exception_fp_ieee_overflow 0
		.amdhsa_exception_fp_ieee_underflow 0
		.amdhsa_exception_fp_ieee_inexact 0
		.amdhsa_exception_int_div_zero 0
	.end_amdhsa_kernel
	.section	.text._ZL27rocblas_rotm_kernel_regularILi512EffEviPT0_lllS1_lllT1_S2_S2_S2_S2_,"axG",@progbits,_ZL27rocblas_rotm_kernel_regularILi512EffEviPT0_lllS1_lllT1_S2_S2_S2_S2_,comdat
.Lfunc_end1:
	.size	_ZL27rocblas_rotm_kernel_regularILi512EffEviPT0_lllS1_lllT1_S2_S2_S2_S2_, .Lfunc_end1-_ZL27rocblas_rotm_kernel_regularILi512EffEviPT0_lllS1_lllT1_S2_S2_S2_S2_
                                        ; -- End function
	.set _ZL27rocblas_rotm_kernel_regularILi512EffEviPT0_lllS1_lllT1_S2_S2_S2_S2_.num_vgpr, 8
	.set _ZL27rocblas_rotm_kernel_regularILi512EffEviPT0_lllS1_lllT1_S2_S2_S2_S2_.num_agpr, 0
	.set _ZL27rocblas_rotm_kernel_regularILi512EffEviPT0_lllS1_lllT1_S2_S2_S2_S2_.numbered_sgpr, 18
	.set _ZL27rocblas_rotm_kernel_regularILi512EffEviPT0_lllS1_lllT1_S2_S2_S2_S2_.num_named_barrier, 0
	.set _ZL27rocblas_rotm_kernel_regularILi512EffEviPT0_lllS1_lllT1_S2_S2_S2_S2_.private_seg_size, 0
	.set _ZL27rocblas_rotm_kernel_regularILi512EffEviPT0_lllS1_lllT1_S2_S2_S2_S2_.uses_vcc, 1
	.set _ZL27rocblas_rotm_kernel_regularILi512EffEviPT0_lllS1_lllT1_S2_S2_S2_S2_.uses_flat_scratch, 0
	.set _ZL27rocblas_rotm_kernel_regularILi512EffEviPT0_lllS1_lllT1_S2_S2_S2_S2_.has_dyn_sized_stack, 0
	.set _ZL27rocblas_rotm_kernel_regularILi512EffEviPT0_lllS1_lllT1_S2_S2_S2_S2_.has_recursion, 0
	.set _ZL27rocblas_rotm_kernel_regularILi512EffEviPT0_lllS1_lllT1_S2_S2_S2_S2_.has_indirect_call, 0
	.section	.AMDGPU.csdata,"",@progbits
; Kernel info:
; codeLenInByte = 396
; TotalNumSgprs: 24
; NumVgprs: 8
; NumAgprs: 0
; TotalNumVgprs: 8
; ScratchSize: 0
; MemoryBound: 0
; FloatMode: 240
; IeeeMode: 1
; LDSByteSize: 0 bytes/workgroup (compile time only)
; SGPRBlocks: 2
; VGPRBlocks: 0
; NumSGPRsForWavesPerEU: 24
; NumVGPRsForWavesPerEU: 8
; AccumOffset: 8
; Occupancy: 8
; WaveLimiterHint : 1
; COMPUTE_PGM_RSRC2:SCRATCH_EN: 0
; COMPUTE_PGM_RSRC2:USER_SGPR: 2
; COMPUTE_PGM_RSRC2:TRAP_HANDLER: 0
; COMPUTE_PGM_RSRC2:TGID_X_EN: 1
; COMPUTE_PGM_RSRC2:TGID_Y_EN: 0
; COMPUTE_PGM_RSRC2:TGID_Z_EN: 0
; COMPUTE_PGM_RSRC2:TIDIG_COMP_CNT: 0
; COMPUTE_PGM_RSRC3_GFX90A:ACCUM_OFFSET: 1
; COMPUTE_PGM_RSRC3_GFX90A:TG_SPLIT: 0
	.section	.text._ZL27rocblas_rotm_kernel_batchedILi512EPdPKdEviT0_lllS3_lllT1_lli,"axG",@progbits,_ZL27rocblas_rotm_kernel_batchedILi512EPdPKdEviT0_lllS3_lllT1_lli,comdat
	.globl	_ZL27rocblas_rotm_kernel_batchedILi512EPdPKdEviT0_lllS3_lllT1_lli ; -- Begin function _ZL27rocblas_rotm_kernel_batchedILi512EPdPKdEviT0_lllS3_lllT1_lli
	.p2align	8
	.type	_ZL27rocblas_rotm_kernel_batchedILi512EPdPKdEviT0_lllS3_lllT1_lli,@function
_ZL27rocblas_rotm_kernel_batchedILi512EPdPKdEviT0_lllS3_lllT1_lli: ; @_ZL27rocblas_rotm_kernel_batchedILi512EPdPKdEviT0_lllS3_lllT1_lli
; %bb.0:
	s_load_dword s8, s[0:1], 0x0
	s_load_dwordx2 s[10:11], s[0:1], 0x58
	s_load_dwordx4 s[4:7], s[0:1], 0x48
	s_load_dword s12, s[0:1], 0x74
	v_mov_b32_e32 v1, 0
	s_waitcnt lgkmcnt(0)
	s_ashr_i32 s9, s8, 31
	s_mul_i32 s11, s11, s3
	s_mul_hi_u32 s13, s10, s3
	s_add_i32 s11, s13, s11
	s_mul_i32 s10, s10, s3
	s_lshl_b64 s[10:11], s[10:11], 3
	s_add_u32 s10, s4, s10
	s_addc_u32 s11, s5, s11
	s_lshl_b64 s[4:5], s[6:7], 3
	s_add_u32 s28, s10, s4
	s_addc_u32 s29, s11, s5
	s_load_dwordx8 s[20:27], s[28:29], 0x0
	s_and_b32 s4, s12, 0xffff
	s_mul_i32 s2, s2, s4
	v_add_u32_e32 v0, s2, v0
	v_cmp_gt_i64_e32 vcc, s[8:9], v[0:1]
	s_waitcnt lgkmcnt(0)
	v_cmp_neq_f64_e64 s[4:5], s[20:21], -2.0
	s_and_b64 s[4:5], s[4:5], vcc
	s_and_saveexec_b64 s[6:7], s[4:5]
	s_cbranch_execz .LBB2_9
; %bb.1:
	s_load_dwordx16 s[4:19], s[0:1], 0x8
	s_waitcnt lgkmcnt(0)
	s_mul_i32 s1, s19, s3
	s_mul_hi_u32 s2, s18, s3
	s_mul_i32 s0, s18, s3
	s_add_i32 s1, s2, s1
	s_lshl_b64 s[0:1], s[0:1], 3
	s_add_u32 s2, s12, s0
	s_addc_u32 s12, s13, s1
	s_lshl_b64 s[0:1], s[14:15], 3
	s_mul_i32 s11, s11, s3
	s_add_u32 s0, s2, s0
	s_mul_hi_u32 s2, s10, s3
	s_addc_u32 s1, s12, s1
	s_add_i32 s11, s2, s11
	s_mul_i32 s10, s10, s3
	s_lshl_b64 s[2:3], s[10:11], 3
	s_add_u32 s4, s4, s2
	s_addc_u32 s5, s5, s3
	s_lshl_b64 s[2:3], s[6:7], 3
	s_add_u32 s2, s4, s2
	s_addc_u32 s3, s5, s3
	v_mad_u64_u32 v[2:3], s[4:5], s8, v0, 0
	v_mov_b32_e32 v4, v3
	v_mad_u64_u32 v[4:5], s[4:5], s9, v0, v[4:5]
	v_mad_u64_u32 v[6:7], s[4:5], s16, v0, 0
	v_mov_b32_e32 v3, v4
	v_mov_b32_e32 v4, v7
	v_mad_u64_u32 v[0:1], s[4:5], s17, v0, v[4:5]
	v_mov_b32_e32 v7, v0
	v_lshl_add_u64 v[4:5], v[2:3], 3, s[2:3]
	v_lshl_add_u64 v[0:1], v[6:7], 3, s[0:1]
	global_load_dwordx2 v[2:3], v[4:5], off
	global_load_dwordx2 v[6:7], v[0:1], off
	s_load_dwordx2 s[0:1], s[28:29], 0x20
	v_cmp_nlt_f64_e64 s[2:3], s[20:21], 0
	s_and_b64 vcc, exec, s[2:3]
	s_cbranch_vccz .LBB2_6
; %bb.2:
	v_cmp_neq_f64_e64 s[4:5], s[20:21], 0
	s_mov_b64 s[2:3], 0
	s_and_b64 vcc, exec, s[4:5]
	s_cbranch_vccz .LBB2_10
; %bb.3:
	s_waitcnt vmcnt(0)
	v_fma_f64 v[8:9], s[22:23], v[2:3], v[6:7]
	global_store_dwordx2 v[4:5], v[8:9], off
	s_waitcnt lgkmcnt(0)
	v_fma_f64 v[8:9], s[0:1], v[6:7], -v[2:3]
	s_andn2_b64 vcc, exec, s[2:3]
	s_cbranch_vccnz .LBB2_5
.LBB2_4:
	s_waitcnt vmcnt(0)
	v_fma_f64 v[8:9], s[26:27], v[6:7], v[2:3]
	global_store_dwordx2 v[4:5], v[8:9], off
	v_fma_f64 v[8:9], s[24:25], v[2:3], v[6:7]
.LBB2_5:
	s_cbranch_execz .LBB2_7
	s_branch .LBB2_8
.LBB2_6:
                                        ; implicit-def: $vgpr8_vgpr9
.LBB2_7:
	s_waitcnt vmcnt(0)
	v_mul_f64 v[8:9], s[26:27], v[6:7]
	v_fmac_f64_e32 v[8:9], s[22:23], v[2:3]
	global_store_dwordx2 v[4:5], v[8:9], off
	s_waitcnt lgkmcnt(0)
	v_mul_f64 v[8:9], s[0:1], v[6:7]
	v_fmac_f64_e32 v[8:9], s[24:25], v[2:3]
.LBB2_8:
	global_store_dwordx2 v[0:1], v[8:9], off
.LBB2_9:
	s_endpgm
.LBB2_10:
                                        ; implicit-def: $vgpr8_vgpr9
	s_branch .LBB2_4
	.section	.rodata,"a",@progbits
	.p2align	6, 0x0
	.amdhsa_kernel _ZL27rocblas_rotm_kernel_batchedILi512EPdPKdEviT0_lllS3_lllT1_lli
		.amdhsa_group_segment_fixed_size 0
		.amdhsa_private_segment_fixed_size 0
		.amdhsa_kernarg_size 360
		.amdhsa_user_sgpr_count 2
		.amdhsa_user_sgpr_dispatch_ptr 0
		.amdhsa_user_sgpr_queue_ptr 0
		.amdhsa_user_sgpr_kernarg_segment_ptr 1
		.amdhsa_user_sgpr_dispatch_id 0
		.amdhsa_user_sgpr_kernarg_preload_length 0
		.amdhsa_user_sgpr_kernarg_preload_offset 0
		.amdhsa_user_sgpr_private_segment_size 0
		.amdhsa_uses_dynamic_stack 0
		.amdhsa_enable_private_segment 0
		.amdhsa_system_sgpr_workgroup_id_x 1
		.amdhsa_system_sgpr_workgroup_id_y 0
		.amdhsa_system_sgpr_workgroup_id_z 1
		.amdhsa_system_sgpr_workgroup_info 0
		.amdhsa_system_vgpr_workitem_id 0
		.amdhsa_next_free_vgpr 10
		.amdhsa_next_free_sgpr 30
		.amdhsa_accum_offset 12
		.amdhsa_reserve_vcc 1
		.amdhsa_float_round_mode_32 0
		.amdhsa_float_round_mode_16_64 0
		.amdhsa_float_denorm_mode_32 3
		.amdhsa_float_denorm_mode_16_64 3
		.amdhsa_dx10_clamp 1
		.amdhsa_ieee_mode 1
		.amdhsa_fp16_overflow 0
		.amdhsa_tg_split 0
		.amdhsa_exception_fp_ieee_invalid_op 0
		.amdhsa_exception_fp_denorm_src 0
		.amdhsa_exception_fp_ieee_div_zero 0
		.amdhsa_exception_fp_ieee_overflow 0
		.amdhsa_exception_fp_ieee_underflow 0
		.amdhsa_exception_fp_ieee_inexact 0
		.amdhsa_exception_int_div_zero 0
	.end_amdhsa_kernel
	.section	.text._ZL27rocblas_rotm_kernel_batchedILi512EPdPKdEviT0_lllS3_lllT1_lli,"axG",@progbits,_ZL27rocblas_rotm_kernel_batchedILi512EPdPKdEviT0_lllS3_lllT1_lli,comdat
.Lfunc_end2:
	.size	_ZL27rocblas_rotm_kernel_batchedILi512EPdPKdEviT0_lllS3_lllT1_lli, .Lfunc_end2-_ZL27rocblas_rotm_kernel_batchedILi512EPdPKdEviT0_lllS3_lllT1_lli
                                        ; -- End function
	.set _ZL27rocblas_rotm_kernel_batchedILi512EPdPKdEviT0_lllS3_lllT1_lli.num_vgpr, 10
	.set _ZL27rocblas_rotm_kernel_batchedILi512EPdPKdEviT0_lllS3_lllT1_lli.num_agpr, 0
	.set _ZL27rocblas_rotm_kernel_batchedILi512EPdPKdEviT0_lllS3_lllT1_lli.numbered_sgpr, 30
	.set _ZL27rocblas_rotm_kernel_batchedILi512EPdPKdEviT0_lllS3_lllT1_lli.num_named_barrier, 0
	.set _ZL27rocblas_rotm_kernel_batchedILi512EPdPKdEviT0_lllS3_lllT1_lli.private_seg_size, 0
	.set _ZL27rocblas_rotm_kernel_batchedILi512EPdPKdEviT0_lllS3_lllT1_lli.uses_vcc, 1
	.set _ZL27rocblas_rotm_kernel_batchedILi512EPdPKdEviT0_lllS3_lllT1_lli.uses_flat_scratch, 0
	.set _ZL27rocblas_rotm_kernel_batchedILi512EPdPKdEviT0_lllS3_lllT1_lli.has_dyn_sized_stack, 0
	.set _ZL27rocblas_rotm_kernel_batchedILi512EPdPKdEviT0_lllS3_lllT1_lli.has_recursion, 0
	.set _ZL27rocblas_rotm_kernel_batchedILi512EPdPKdEviT0_lllS3_lllT1_lli.has_indirect_call, 0
	.section	.AMDGPU.csdata,"",@progbits
; Kernel info:
; codeLenInByte = 484
; TotalNumSgprs: 36
; NumVgprs: 10
; NumAgprs: 0
; TotalNumVgprs: 10
; ScratchSize: 0
; MemoryBound: 0
; FloatMode: 240
; IeeeMode: 1
; LDSByteSize: 0 bytes/workgroup (compile time only)
; SGPRBlocks: 4
; VGPRBlocks: 1
; NumSGPRsForWavesPerEU: 36
; NumVGPRsForWavesPerEU: 10
; AccumOffset: 12
; Occupancy: 8
; WaveLimiterHint : 1
; COMPUTE_PGM_RSRC2:SCRATCH_EN: 0
; COMPUTE_PGM_RSRC2:USER_SGPR: 2
; COMPUTE_PGM_RSRC2:TRAP_HANDLER: 0
; COMPUTE_PGM_RSRC2:TGID_X_EN: 1
; COMPUTE_PGM_RSRC2:TGID_Y_EN: 0
; COMPUTE_PGM_RSRC2:TGID_Z_EN: 1
; COMPUTE_PGM_RSRC2:TIDIG_COMP_CNT: 0
; COMPUTE_PGM_RSRC3_GFX90A:ACCUM_OFFSET: 2
; COMPUTE_PGM_RSRC3_GFX90A:TG_SPLIT: 0
	.section	.text._ZL27rocblas_rotm_kernel_regularILi512EddEviPT0_lllS1_lllT1_S2_S2_S2_S2_,"axG",@progbits,_ZL27rocblas_rotm_kernel_regularILi512EddEviPT0_lllS1_lllT1_S2_S2_S2_S2_,comdat
	.globl	_ZL27rocblas_rotm_kernel_regularILi512EddEviPT0_lllS1_lllT1_S2_S2_S2_S2_ ; -- Begin function _ZL27rocblas_rotm_kernel_regularILi512EddEviPT0_lllS1_lllT1_S2_S2_S2_S2_
	.p2align	8
	.type	_ZL27rocblas_rotm_kernel_regularILi512EddEviPT0_lllS1_lllT1_S2_S2_S2_S2_,@function
_ZL27rocblas_rotm_kernel_regularILi512EddEviPT0_lllS1_lllT1_S2_S2_S2_S2_: ; @_ZL27rocblas_rotm_kernel_regularILi512EddEviPT0_lllS1_lllT1_S2_S2_S2_S2_
; %bb.0:
	s_load_dword s12, s[0:1], 0x0
	s_load_dword s3, s[0:1], 0x7c
	s_load_dwordx8 s[4:11], s[0:1], 0x48
	v_mov_b32_e32 v1, 0
	s_waitcnt lgkmcnt(0)
	s_ashr_i32 s13, s12, 31
	s_and_b32 s3, s3, 0xffff
	s_mul_i32 s2, s2, s3
	v_add_u32_e32 v0, s2, v0
	v_cmp_gt_i64_e32 vcc, s[12:13], v[0:1]
	v_cmp_neq_f64_e64 s[2:3], s[4:5], -2.0
	s_and_b64 s[2:3], s[2:3], vcc
	s_and_saveexec_b64 s[12:13], s[2:3]
	s_cbranch_execz .LBB3_9
; %bb.1:
	s_load_dwordx4 s[12:15], s[0:1], 0x28
	s_load_dwordx4 s[16:19], s[0:1], 0x8
	s_load_dwordx2 s[2:3], s[0:1], 0x18
	s_load_dwordx2 s[20:21], s[0:1], 0x38
	s_waitcnt lgkmcnt(0)
	s_lshl_b64 s[14:15], s[14:15], 3
	s_add_u32 s12, s12, s14
	s_addc_u32 s13, s13, s15
	s_lshl_b64 s[14:15], s[18:19], 3
	s_add_u32 s14, s16, s14
	s_addc_u32 s15, s17, s15
	v_mad_u64_u32 v[2:3], s[16:17], s2, v0, 0
	v_mov_b32_e32 v4, v3
	v_mad_u64_u32 v[4:5], s[2:3], s3, v0, v[4:5]
	v_mad_u64_u32 v[6:7], s[2:3], s20, v0, 0
	v_mov_b32_e32 v3, v4
	v_mov_b32_e32 v4, v7
	v_mad_u64_u32 v[0:1], s[2:3], s21, v0, v[4:5]
	v_mov_b32_e32 v7, v0
	v_lshl_add_u64 v[4:5], v[2:3], 3, s[14:15]
	v_lshl_add_u64 v[0:1], v[6:7], 3, s[12:13]
	global_load_dwordx2 v[2:3], v[4:5], off
	global_load_dwordx2 v[6:7], v[0:1], off
	s_load_dwordx2 s[0:1], s[0:1], 0x68
	v_cmp_nlt_f64_e64 s[2:3], s[4:5], 0
	s_and_b64 vcc, exec, s[2:3]
	s_cbranch_vccz .LBB3_6
; %bb.2:
	v_cmp_neq_f64_e64 s[4:5], s[4:5], 0
	s_mov_b64 s[2:3], 0
	s_and_b64 vcc, exec, s[4:5]
	s_cbranch_vccz .LBB3_10
; %bb.3:
	s_waitcnt vmcnt(0)
	v_fma_f64 v[8:9], s[6:7], v[2:3], v[6:7]
	global_store_dwordx2 v[4:5], v[8:9], off
	s_waitcnt lgkmcnt(0)
	v_fma_f64 v[8:9], s[0:1], v[6:7], -v[2:3]
	s_andn2_b64 vcc, exec, s[2:3]
	s_cbranch_vccnz .LBB3_5
.LBB3_4:
	s_waitcnt vmcnt(0)
	v_fma_f64 v[8:9], s[10:11], v[6:7], v[2:3]
	global_store_dwordx2 v[4:5], v[8:9], off
	v_fma_f64 v[8:9], s[8:9], v[2:3], v[6:7]
.LBB3_5:
	s_cbranch_execz .LBB3_7
	s_branch .LBB3_8
.LBB3_6:
                                        ; implicit-def: $vgpr8_vgpr9
.LBB3_7:
	s_waitcnt vmcnt(0)
	v_mul_f64 v[8:9], s[10:11], v[6:7]
	v_fmac_f64_e32 v[8:9], s[6:7], v[2:3]
	global_store_dwordx2 v[4:5], v[8:9], off
	s_waitcnt lgkmcnt(0)
	v_mul_f64 v[8:9], s[0:1], v[6:7]
	v_fmac_f64_e32 v[8:9], s[8:9], v[2:3]
.LBB3_8:
	global_store_dwordx2 v[0:1], v[8:9], off
.LBB3_9:
	s_endpgm
.LBB3_10:
                                        ; implicit-def: $vgpr8_vgpr9
	s_branch .LBB3_4
	.section	.rodata,"a",@progbits
	.p2align	6, 0x0
	.amdhsa_kernel _ZL27rocblas_rotm_kernel_regularILi512EddEviPT0_lllS1_lllT1_S2_S2_S2_S2_
		.amdhsa_group_segment_fixed_size 0
		.amdhsa_private_segment_fixed_size 0
		.amdhsa_kernarg_size 368
		.amdhsa_user_sgpr_count 2
		.amdhsa_user_sgpr_dispatch_ptr 0
		.amdhsa_user_sgpr_queue_ptr 0
		.amdhsa_user_sgpr_kernarg_segment_ptr 1
		.amdhsa_user_sgpr_dispatch_id 0
		.amdhsa_user_sgpr_kernarg_preload_length 0
		.amdhsa_user_sgpr_kernarg_preload_offset 0
		.amdhsa_user_sgpr_private_segment_size 0
		.amdhsa_uses_dynamic_stack 0
		.amdhsa_enable_private_segment 0
		.amdhsa_system_sgpr_workgroup_id_x 1
		.amdhsa_system_sgpr_workgroup_id_y 0
		.amdhsa_system_sgpr_workgroup_id_z 0
		.amdhsa_system_sgpr_workgroup_info 0
		.amdhsa_system_vgpr_workitem_id 0
		.amdhsa_next_free_vgpr 10
		.amdhsa_next_free_sgpr 22
		.amdhsa_accum_offset 12
		.amdhsa_reserve_vcc 1
		.amdhsa_float_round_mode_32 0
		.amdhsa_float_round_mode_16_64 0
		.amdhsa_float_denorm_mode_32 3
		.amdhsa_float_denorm_mode_16_64 3
		.amdhsa_dx10_clamp 1
		.amdhsa_ieee_mode 1
		.amdhsa_fp16_overflow 0
		.amdhsa_tg_split 0
		.amdhsa_exception_fp_ieee_invalid_op 0
		.amdhsa_exception_fp_denorm_src 0
		.amdhsa_exception_fp_ieee_div_zero 0
		.amdhsa_exception_fp_ieee_overflow 0
		.amdhsa_exception_fp_ieee_underflow 0
		.amdhsa_exception_fp_ieee_inexact 0
		.amdhsa_exception_int_div_zero 0
	.end_amdhsa_kernel
	.section	.text._ZL27rocblas_rotm_kernel_regularILi512EddEviPT0_lllS1_lllT1_S2_S2_S2_S2_,"axG",@progbits,_ZL27rocblas_rotm_kernel_regularILi512EddEviPT0_lllS1_lllT1_S2_S2_S2_S2_,comdat
.Lfunc_end3:
	.size	_ZL27rocblas_rotm_kernel_regularILi512EddEviPT0_lllS1_lllT1_S2_S2_S2_S2_, .Lfunc_end3-_ZL27rocblas_rotm_kernel_regularILi512EddEviPT0_lllS1_lllT1_S2_S2_S2_S2_
                                        ; -- End function
	.set _ZL27rocblas_rotm_kernel_regularILi512EddEviPT0_lllS1_lllT1_S2_S2_S2_S2_.num_vgpr, 10
	.set _ZL27rocblas_rotm_kernel_regularILi512EddEviPT0_lllS1_lllT1_S2_S2_S2_S2_.num_agpr, 0
	.set _ZL27rocblas_rotm_kernel_regularILi512EddEviPT0_lllS1_lllT1_S2_S2_S2_S2_.numbered_sgpr, 22
	.set _ZL27rocblas_rotm_kernel_regularILi512EddEviPT0_lllS1_lllT1_S2_S2_S2_S2_.num_named_barrier, 0
	.set _ZL27rocblas_rotm_kernel_regularILi512EddEviPT0_lllS1_lllT1_S2_S2_S2_S2_.private_seg_size, 0
	.set _ZL27rocblas_rotm_kernel_regularILi512EddEviPT0_lllS1_lllT1_S2_S2_S2_S2_.uses_vcc, 1
	.set _ZL27rocblas_rotm_kernel_regularILi512EddEviPT0_lllS1_lllT1_S2_S2_S2_S2_.uses_flat_scratch, 0
	.set _ZL27rocblas_rotm_kernel_regularILi512EddEviPT0_lllS1_lllT1_S2_S2_S2_S2_.has_dyn_sized_stack, 0
	.set _ZL27rocblas_rotm_kernel_regularILi512EddEviPT0_lllS1_lllT1_S2_S2_S2_S2_.has_recursion, 0
	.set _ZL27rocblas_rotm_kernel_regularILi512EddEviPT0_lllS1_lllT1_S2_S2_S2_S2_.has_indirect_call, 0
	.section	.AMDGPU.csdata,"",@progbits
; Kernel info:
; codeLenInByte = 392
; TotalNumSgprs: 28
; NumVgprs: 10
; NumAgprs: 0
; TotalNumVgprs: 10
; ScratchSize: 0
; MemoryBound: 0
; FloatMode: 240
; IeeeMode: 1
; LDSByteSize: 0 bytes/workgroup (compile time only)
; SGPRBlocks: 3
; VGPRBlocks: 1
; NumSGPRsForWavesPerEU: 28
; NumVGPRsForWavesPerEU: 10
; AccumOffset: 12
; Occupancy: 8
; WaveLimiterHint : 1
; COMPUTE_PGM_RSRC2:SCRATCH_EN: 0
; COMPUTE_PGM_RSRC2:USER_SGPR: 2
; COMPUTE_PGM_RSRC2:TRAP_HANDLER: 0
; COMPUTE_PGM_RSRC2:TGID_X_EN: 1
; COMPUTE_PGM_RSRC2:TGID_Y_EN: 0
; COMPUTE_PGM_RSRC2:TGID_Z_EN: 0
; COMPUTE_PGM_RSRC2:TIDIG_COMP_CNT: 0
; COMPUTE_PGM_RSRC3_GFX90A:ACCUM_OFFSET: 2
; COMPUTE_PGM_RSRC3_GFX90A:TG_SPLIT: 0
	.section	.text._ZL27rocblas_rotm_kernel_batchedILi512EPKPfPKPKfEviT0_lllS7_lllT1_lli,"axG",@progbits,_ZL27rocblas_rotm_kernel_batchedILi512EPKPfPKPKfEviT0_lllS7_lllT1_lli,comdat
	.globl	_ZL27rocblas_rotm_kernel_batchedILi512EPKPfPKPKfEviT0_lllS7_lllT1_lli ; -- Begin function _ZL27rocblas_rotm_kernel_batchedILi512EPKPfPKPKfEviT0_lllS7_lllT1_lli
	.p2align	8
	.type	_ZL27rocblas_rotm_kernel_batchedILi512EPKPfPKPKfEviT0_lllS7_lllT1_lli,@function
_ZL27rocblas_rotm_kernel_batchedILi512EPKPfPKPKfEviT0_lllS7_lllT1_lli: ; @_ZL27rocblas_rotm_kernel_batchedILi512EPKPfPKPKfEviT0_lllS7_lllT1_lli
; %bb.0:
	s_mov_b32 s4, s3
	s_load_dword s12, s[0:1], 0x0
	s_load_dwordx4 s[8:11], s[0:1], 0x48
	s_load_dword s3, s[0:1], 0x74
	s_mov_b32 s5, 0
	s_lshl_b64 s[4:5], s[4:5], 3
	s_waitcnt lgkmcnt(0)
	s_ashr_i32 s13, s12, 31
	s_add_u32 s6, s8, s4
	s_addc_u32 s7, s9, s5
	s_load_dwordx2 s[6:7], s[6:7], 0x0
	s_lshl_b64 s[8:9], s[10:11], 2
	v_mov_b32_e32 v1, 0
	s_waitcnt lgkmcnt(0)
	s_add_u32 s6, s6, s8
	s_addc_u32 s7, s7, s9
	v_mov_b64_e32 v[2:3], s[6:7]
	flat_load_dwordx4 v[2:5], v[2:3]
	s_and_b32 s3, s3, 0xffff
	s_mul_i32 s2, s2, s3
	v_add_u32_e32 v0, s2, v0
	v_cmp_gt_i64_e32 vcc, s[12:13], v[0:1]
	s_waitcnt vmcnt(0) lgkmcnt(0)
	v_cmp_neq_f32_e64 s[2:3], -2.0, v2
	s_and_b64 s[2:3], s[2:3], vcc
	s_and_saveexec_b64 s[8:9], s[2:3]
	s_cbranch_execz .LBB4_10
; %bb.1:
	s_load_dwordx4 s[8:11], s[0:1], 0x28
	s_load_dwordx4 s[12:15], s[0:1], 0x8
	s_load_dwordx2 s[2:3], s[0:1], 0x18
	s_load_dwordx2 s[16:17], s[0:1], 0x38
	v_mov_b64_e32 v[6:7], s[6:7]
	s_waitcnt lgkmcnt(0)
	s_add_u32 s0, s8, s4
	s_addc_u32 s1, s9, s5
	s_load_dwordx2 s[0:1], s[0:1], 0x0
	flat_load_dword v10, v[6:7] offset:16
	v_mad_u64_u32 v[6:7], s[6:7], s2, v0, 0
	s_lshl_b64 s[6:7], s[10:11], 2
	s_waitcnt lgkmcnt(0)
	s_add_u32 s0, s0, s6
	s_addc_u32 s1, s1, s7
	s_add_u32 s4, s12, s4
	s_addc_u32 s5, s13, s5
	s_load_dwordx2 s[4:5], s[4:5], 0x0
	v_mov_b32_e32 v8, v7
	v_mad_u64_u32 v[8:9], s[2:3], s3, v0, v[8:9]
	s_lshl_b64 s[2:3], s[14:15], 2
	s_waitcnt lgkmcnt(0)
	s_add_u32 s2, s4, s2
	s_addc_u32 s3, s5, s3
	v_mad_u64_u32 v[12:13], s[4:5], s16, v0, 0
	v_mov_b32_e32 v7, v8
	v_mov_b32_e32 v8, v13
	v_mad_u64_u32 v[0:1], s[4:5], s17, v0, v[8:9]
	v_mov_b32_e32 v13, v0
	v_lshl_add_u64 v[8:9], v[6:7], 2, s[2:3]
	v_lshl_add_u64 v[0:1], v[12:13], 2, s[0:1]
	flat_load_dword v6, v[8:9]
	flat_load_dword v7, v[0:1]
	v_cmp_ngt_f32_e32 vcc, 0, v2
	s_and_saveexec_b64 s[0:1], vcc
	s_xor_b64 s[0:1], exec, s[0:1]
	s_cbranch_execz .LBB4_7
; %bb.2:
	v_cmp_neq_f32_e32 vcc, 0, v2
	s_and_saveexec_b64 s[2:3], vcc
	s_xor_b64 s[2:3], exec, s[2:3]
	s_cbranch_execz .LBB4_4
; %bb.3:
	s_waitcnt vmcnt(0) lgkmcnt(0)
	v_fma_f32 v2, v3, v6, v7
	flat_store_dword v[8:9], v2
	v_fma_f32 v7, v10, v7, -v6
                                        ; implicit-def: $vgpr2_vgpr3_vgpr4_vgpr5
                                        ; implicit-def: $vgpr8_vgpr9
.LBB4_4:
	s_andn2_saveexec_b64 s[2:3], s[2:3]
	s_cbranch_execz .LBB4_6
; %bb.5:
	s_waitcnt vmcnt(0) lgkmcnt(0)
	v_fma_f32 v2, v5, v7, v6
	v_fmac_f32_e32 v7, v4, v6
	flat_store_dword v[8:9], v2
.LBB4_6:
	s_or_b64 exec, exec, s[2:3]
                                        ; implicit-def: $vgpr3
                                        ; implicit-def: $vgpr8_vgpr9
                                        ; implicit-def: $vgpr10
.LBB4_7:
	s_andn2_saveexec_b64 s[0:1], s[0:1]
	s_cbranch_execz .LBB4_9
; %bb.8:
	v_mov_b32_e32 v2, v3
	v_mov_b32_e32 v3, v5
	s_waitcnt vmcnt(0) lgkmcnt(0)
	v_pk_mul_f32 v[2:3], v[2:3], v[6:7]
	v_mov_b32_e32 v5, v10
	v_add_f32_e32 v2, v2, v3
	flat_store_dword v[8:9], v2
	v_pk_mul_f32 v[2:3], v[4:5], v[6:7]
	s_nop 0
	v_add_f32_e32 v7, v2, v3
.LBB4_9:
	s_or_b64 exec, exec, s[0:1]
	s_waitcnt vmcnt(0) lgkmcnt(0)
	flat_store_dword v[0:1], v7
.LBB4_10:
	s_endpgm
	.section	.rodata,"a",@progbits
	.p2align	6, 0x0
	.amdhsa_kernel _ZL27rocblas_rotm_kernel_batchedILi512EPKPfPKPKfEviT0_lllS7_lllT1_lli
		.amdhsa_group_segment_fixed_size 0
		.amdhsa_private_segment_fixed_size 0
		.amdhsa_kernarg_size 360
		.amdhsa_user_sgpr_count 2
		.amdhsa_user_sgpr_dispatch_ptr 0
		.amdhsa_user_sgpr_queue_ptr 0
		.amdhsa_user_sgpr_kernarg_segment_ptr 1
		.amdhsa_user_sgpr_dispatch_id 0
		.amdhsa_user_sgpr_kernarg_preload_length 0
		.amdhsa_user_sgpr_kernarg_preload_offset 0
		.amdhsa_user_sgpr_private_segment_size 0
		.amdhsa_uses_dynamic_stack 0
		.amdhsa_enable_private_segment 0
		.amdhsa_system_sgpr_workgroup_id_x 1
		.amdhsa_system_sgpr_workgroup_id_y 0
		.amdhsa_system_sgpr_workgroup_id_z 1
		.amdhsa_system_sgpr_workgroup_info 0
		.amdhsa_system_vgpr_workitem_id 0
		.amdhsa_next_free_vgpr 14
		.amdhsa_next_free_sgpr 18
		.amdhsa_accum_offset 16
		.amdhsa_reserve_vcc 1
		.amdhsa_float_round_mode_32 0
		.amdhsa_float_round_mode_16_64 0
		.amdhsa_float_denorm_mode_32 3
		.amdhsa_float_denorm_mode_16_64 3
		.amdhsa_dx10_clamp 1
		.amdhsa_ieee_mode 1
		.amdhsa_fp16_overflow 0
		.amdhsa_tg_split 0
		.amdhsa_exception_fp_ieee_invalid_op 0
		.amdhsa_exception_fp_denorm_src 0
		.amdhsa_exception_fp_ieee_div_zero 0
		.amdhsa_exception_fp_ieee_overflow 0
		.amdhsa_exception_fp_ieee_underflow 0
		.amdhsa_exception_fp_ieee_inexact 0
		.amdhsa_exception_int_div_zero 0
	.end_amdhsa_kernel
	.section	.text._ZL27rocblas_rotm_kernel_batchedILi512EPKPfPKPKfEviT0_lllS7_lllT1_lli,"axG",@progbits,_ZL27rocblas_rotm_kernel_batchedILi512EPKPfPKPKfEviT0_lllS7_lllT1_lli,comdat
.Lfunc_end4:
	.size	_ZL27rocblas_rotm_kernel_batchedILi512EPKPfPKPKfEviT0_lllS7_lllT1_lli, .Lfunc_end4-_ZL27rocblas_rotm_kernel_batchedILi512EPKPfPKPKfEviT0_lllS7_lllT1_lli
                                        ; -- End function
	.set _ZL27rocblas_rotm_kernel_batchedILi512EPKPfPKPKfEviT0_lllS7_lllT1_lli.num_vgpr, 14
	.set _ZL27rocblas_rotm_kernel_batchedILi512EPKPfPKPKfEviT0_lllS7_lllT1_lli.num_agpr, 0
	.set _ZL27rocblas_rotm_kernel_batchedILi512EPKPfPKPKfEviT0_lllS7_lllT1_lli.numbered_sgpr, 18
	.set _ZL27rocblas_rotm_kernel_batchedILi512EPKPfPKPKfEviT0_lllS7_lllT1_lli.num_named_barrier, 0
	.set _ZL27rocblas_rotm_kernel_batchedILi512EPKPfPKPKfEviT0_lllS7_lllT1_lli.private_seg_size, 0
	.set _ZL27rocblas_rotm_kernel_batchedILi512EPKPfPKPKfEviT0_lllS7_lllT1_lli.uses_vcc, 1
	.set _ZL27rocblas_rotm_kernel_batchedILi512EPKPfPKPKfEviT0_lllS7_lllT1_lli.uses_flat_scratch, 0
	.set _ZL27rocblas_rotm_kernel_batchedILi512EPKPfPKPKfEviT0_lllS7_lllT1_lli.has_dyn_sized_stack, 0
	.set _ZL27rocblas_rotm_kernel_batchedILi512EPKPfPKPKfEviT0_lllS7_lllT1_lli.has_recursion, 0
	.set _ZL27rocblas_rotm_kernel_batchedILi512EPKPfPKPKfEviT0_lllS7_lllT1_lli.has_indirect_call, 0
	.section	.AMDGPU.csdata,"",@progbits
; Kernel info:
; codeLenInByte = 504
; TotalNumSgprs: 24
; NumVgprs: 14
; NumAgprs: 0
; TotalNumVgprs: 14
; ScratchSize: 0
; MemoryBound: 0
; FloatMode: 240
; IeeeMode: 1
; LDSByteSize: 0 bytes/workgroup (compile time only)
; SGPRBlocks: 2
; VGPRBlocks: 1
; NumSGPRsForWavesPerEU: 24
; NumVGPRsForWavesPerEU: 14
; AccumOffset: 16
; Occupancy: 8
; WaveLimiterHint : 1
; COMPUTE_PGM_RSRC2:SCRATCH_EN: 0
; COMPUTE_PGM_RSRC2:USER_SGPR: 2
; COMPUTE_PGM_RSRC2:TRAP_HANDLER: 0
; COMPUTE_PGM_RSRC2:TGID_X_EN: 1
; COMPUTE_PGM_RSRC2:TGID_Y_EN: 0
; COMPUTE_PGM_RSRC2:TGID_Z_EN: 1
; COMPUTE_PGM_RSRC2:TIDIG_COMP_CNT: 0
; COMPUTE_PGM_RSRC3_GFX90A:ACCUM_OFFSET: 3
; COMPUTE_PGM_RSRC3_GFX90A:TG_SPLIT: 0
	.section	.text._ZL27rocblas_rotm_kernel_regularILi512EKPfPKfEviPT0_lllS5_lllT1_S6_S6_S6_S6_,"axG",@progbits,_ZL27rocblas_rotm_kernel_regularILi512EKPfPKfEviPT0_lllS5_lllT1_S6_S6_S6_S6_,comdat
	.globl	_ZL27rocblas_rotm_kernel_regularILi512EKPfPKfEviPT0_lllS5_lllT1_S6_S6_S6_S6_ ; -- Begin function _ZL27rocblas_rotm_kernel_regularILi512EKPfPKfEviPT0_lllS5_lllT1_S6_S6_S6_S6_
	.p2align	8
	.type	_ZL27rocblas_rotm_kernel_regularILi512EKPfPKfEviPT0_lllS5_lllT1_S6_S6_S6_S6_,@function
_ZL27rocblas_rotm_kernel_regularILi512EKPfPKfEviPT0_lllS5_lllT1_S6_S6_S6_S6_: ; @_ZL27rocblas_rotm_kernel_regularILi512EKPfPKfEviPT0_lllS5_lllT1_S6_S6_S6_S6_
; %bb.0:
	s_load_dword s14, s[0:1], 0x0
	s_load_dwordx8 s[4:11], s[0:1], 0x48
	s_load_dword s3, s[0:1], 0x7c
	v_mov_b32_e32 v1, 0
	s_waitcnt lgkmcnt(0)
	s_ashr_i32 s15, s14, 31
	s_load_dword s12, s[4:5], 0x0
	s_and_b32 s3, s3, 0xffff
	s_mul_i32 s2, s2, s3
	v_add_u32_e32 v0, s2, v0
	v_cmp_gt_i64_e32 vcc, s[14:15], v[0:1]
	s_waitcnt lgkmcnt(0)
	v_cmp_neq_f32_e64 s[2:3], s12, -2.0
	s_and_b64 s[2:3], s[2:3], vcc
	s_and_saveexec_b64 s[4:5], s[2:3]
	s_cbranch_execz .LBB5_9
; %bb.1:
	s_load_dwordx4 s[16:19], s[0:1], 0x28
	s_load_dwordx4 s[20:23], s[0:1], 0x8
	s_load_dwordx2 s[2:3], s[0:1], 0x18
	s_load_dwordx2 s[4:5], s[0:1], 0x38
	s_waitcnt lgkmcnt(0)
	s_load_dwordx2 s[14:15], s[16:17], 0x0
	s_lshl_b64 s[16:17], s[18:19], 2
	s_load_dwordx2 s[18:19], s[20:21], 0x0
	v_mad_u64_u32 v[2:3], s[20:21], s2, v0, 0
	v_mov_b32_e32 v4, v3
	s_waitcnt lgkmcnt(0)
	s_add_u32 s14, s14, s16
	v_mad_u64_u32 v[4:5], s[2:3], s3, v0, v[4:5]
	v_mad_u64_u32 v[6:7], s[2:3], s4, v0, 0
	s_addc_u32 s15, s15, s17
	s_lshl_b64 s[16:17], s[22:23], 2
	v_mov_b32_e32 v3, v4
	v_mov_b32_e32 v4, v7
	s_add_u32 s16, s18, s16
	v_mad_u64_u32 v[0:1], s[2:3], s5, v0, v[4:5]
	s_addc_u32 s17, s19, s17
	v_mov_b32_e32 v7, v0
	v_lshl_add_u64 v[4:5], v[2:3], 2, s[16:17]
	v_lshl_add_u64 v[0:1], v[6:7], 2, s[14:15]
	flat_load_dword v2, v[4:5]
	flat_load_dword v3, v[0:1]
	s_load_dwordx2 s[14:15], s[0:1], 0x68
	s_load_dword s4, s[6:7], 0x0
	s_load_dword s2, s[8:9], 0x0
	;; [unrolled: 1-line block ×3, first 2 shown]
	v_cmp_nlt_f32_e64 s[0:1], s12, 0
	s_waitcnt lgkmcnt(0)
	s_load_dword s3, s[14:15], 0x0
	s_and_b64 vcc, exec, s[0:1]
	s_cbranch_vccz .LBB5_6
; %bb.2:
	v_cmp_neq_f32_e64 s[0:1], s12, 0
	s_and_b64 vcc, exec, s[0:1]
	s_cbranch_vccz .LBB5_10
; %bb.3:
	s_waitcnt vmcnt(0)
	v_fma_f32 v6, s4, v2, v3
	flat_store_dword v[4:5], v6
	s_waitcnt lgkmcnt(0)
	v_fma_f32 v6, s3, v3, -v2
	s_cbranch_execnz .LBB5_5
.LBB5_4:
	s_waitcnt vmcnt(0)
	v_fma_f32 v6, s5, v3, v2
	flat_store_dword v[4:5], v6
	v_fma_f32 v6, s2, v2, v3
.LBB5_5:
	s_cbranch_execz .LBB5_7
	s_branch .LBB5_8
.LBB5_6:
                                        ; implicit-def: $vgpr6
.LBB5_7:
	s_waitcnt vmcnt(0)
	v_pk_mul_f32 v[6:7], s[4:5], v[2:3]
	s_waitcnt lgkmcnt(0)
	v_pk_mul_f32 v[2:3], s[2:3], v[2:3]
	v_add_f32_e32 v6, v6, v7
	flat_store_dword v[4:5], v6
	v_add_f32_e32 v6, v2, v3
.LBB5_8:
	flat_store_dword v[0:1], v6
.LBB5_9:
	s_endpgm
.LBB5_10:
                                        ; implicit-def: $vgpr6
	s_branch .LBB5_4
	.section	.rodata,"a",@progbits
	.p2align	6, 0x0
	.amdhsa_kernel _ZL27rocblas_rotm_kernel_regularILi512EKPfPKfEviPT0_lllS5_lllT1_S6_S6_S6_S6_
		.amdhsa_group_segment_fixed_size 0
		.amdhsa_private_segment_fixed_size 0
		.amdhsa_kernarg_size 368
		.amdhsa_user_sgpr_count 2
		.amdhsa_user_sgpr_dispatch_ptr 0
		.amdhsa_user_sgpr_queue_ptr 0
		.amdhsa_user_sgpr_kernarg_segment_ptr 1
		.amdhsa_user_sgpr_dispatch_id 0
		.amdhsa_user_sgpr_kernarg_preload_length 0
		.amdhsa_user_sgpr_kernarg_preload_offset 0
		.amdhsa_user_sgpr_private_segment_size 0
		.amdhsa_uses_dynamic_stack 0
		.amdhsa_enable_private_segment 0
		.amdhsa_system_sgpr_workgroup_id_x 1
		.amdhsa_system_sgpr_workgroup_id_y 0
		.amdhsa_system_sgpr_workgroup_id_z 0
		.amdhsa_system_sgpr_workgroup_info 0
		.amdhsa_system_vgpr_workitem_id 0
		.amdhsa_next_free_vgpr 8
		.amdhsa_next_free_sgpr 24
		.amdhsa_accum_offset 8
		.amdhsa_reserve_vcc 1
		.amdhsa_float_round_mode_32 0
		.amdhsa_float_round_mode_16_64 0
		.amdhsa_float_denorm_mode_32 3
		.amdhsa_float_denorm_mode_16_64 3
		.amdhsa_dx10_clamp 1
		.amdhsa_ieee_mode 1
		.amdhsa_fp16_overflow 0
		.amdhsa_tg_split 0
		.amdhsa_exception_fp_ieee_invalid_op 0
		.amdhsa_exception_fp_denorm_src 0
		.amdhsa_exception_fp_ieee_div_zero 0
		.amdhsa_exception_fp_ieee_overflow 0
		.amdhsa_exception_fp_ieee_underflow 0
		.amdhsa_exception_fp_ieee_inexact 0
		.amdhsa_exception_int_div_zero 0
	.end_amdhsa_kernel
	.section	.text._ZL27rocblas_rotm_kernel_regularILi512EKPfPKfEviPT0_lllS5_lllT1_S6_S6_S6_S6_,"axG",@progbits,_ZL27rocblas_rotm_kernel_regularILi512EKPfPKfEviPT0_lllS5_lllT1_S6_S6_S6_S6_,comdat
.Lfunc_end5:
	.size	_ZL27rocblas_rotm_kernel_regularILi512EKPfPKfEviPT0_lllS5_lllT1_S6_S6_S6_S6_, .Lfunc_end5-_ZL27rocblas_rotm_kernel_regularILi512EKPfPKfEviPT0_lllS5_lllT1_S6_S6_S6_S6_
                                        ; -- End function
	.set _ZL27rocblas_rotm_kernel_regularILi512EKPfPKfEviPT0_lllS5_lllT1_S6_S6_S6_S6_.num_vgpr, 8
	.set _ZL27rocblas_rotm_kernel_regularILi512EKPfPKfEviPT0_lllS5_lllT1_S6_S6_S6_S6_.num_agpr, 0
	.set _ZL27rocblas_rotm_kernel_regularILi512EKPfPKfEviPT0_lllS5_lllT1_S6_S6_S6_S6_.numbered_sgpr, 24
	.set _ZL27rocblas_rotm_kernel_regularILi512EKPfPKfEviPT0_lllS5_lllT1_S6_S6_S6_S6_.num_named_barrier, 0
	.set _ZL27rocblas_rotm_kernel_regularILi512EKPfPKfEviPT0_lllS5_lllT1_S6_S6_S6_S6_.private_seg_size, 0
	.set _ZL27rocblas_rotm_kernel_regularILi512EKPfPKfEviPT0_lllS5_lllT1_S6_S6_S6_S6_.uses_vcc, 1
	.set _ZL27rocblas_rotm_kernel_regularILi512EKPfPKfEviPT0_lllS5_lllT1_S6_S6_S6_S6_.uses_flat_scratch, 0
	.set _ZL27rocblas_rotm_kernel_regularILi512EKPfPKfEviPT0_lllS5_lllT1_S6_S6_S6_S6_.has_dyn_sized_stack, 0
	.set _ZL27rocblas_rotm_kernel_regularILi512EKPfPKfEviPT0_lllS5_lllT1_S6_S6_S6_S6_.has_recursion, 0
	.set _ZL27rocblas_rotm_kernel_regularILi512EKPfPKfEviPT0_lllS5_lllT1_S6_S6_S6_S6_.has_indirect_call, 0
	.section	.AMDGPU.csdata,"",@progbits
; Kernel info:
; codeLenInByte = 452
; TotalNumSgprs: 30
; NumVgprs: 8
; NumAgprs: 0
; TotalNumVgprs: 8
; ScratchSize: 0
; MemoryBound: 0
; FloatMode: 240
; IeeeMode: 1
; LDSByteSize: 0 bytes/workgroup (compile time only)
; SGPRBlocks: 3
; VGPRBlocks: 0
; NumSGPRsForWavesPerEU: 30
; NumVGPRsForWavesPerEU: 8
; AccumOffset: 8
; Occupancy: 8
; WaveLimiterHint : 1
; COMPUTE_PGM_RSRC2:SCRATCH_EN: 0
; COMPUTE_PGM_RSRC2:USER_SGPR: 2
; COMPUTE_PGM_RSRC2:TRAP_HANDLER: 0
; COMPUTE_PGM_RSRC2:TGID_X_EN: 1
; COMPUTE_PGM_RSRC2:TGID_Y_EN: 0
; COMPUTE_PGM_RSRC2:TGID_Z_EN: 0
; COMPUTE_PGM_RSRC2:TIDIG_COMP_CNT: 0
; COMPUTE_PGM_RSRC3_GFX90A:ACCUM_OFFSET: 1
; COMPUTE_PGM_RSRC3_GFX90A:TG_SPLIT: 0
	.section	.text._ZL27rocblas_rotm_kernel_batchedILi512EPKPdPKPKdEviT0_lllS7_lllT1_lli,"axG",@progbits,_ZL27rocblas_rotm_kernel_batchedILi512EPKPdPKPKdEviT0_lllS7_lllT1_lli,comdat
	.globl	_ZL27rocblas_rotm_kernel_batchedILi512EPKPdPKPKdEviT0_lllS7_lllT1_lli ; -- Begin function _ZL27rocblas_rotm_kernel_batchedILi512EPKPdPKPKdEviT0_lllS7_lllT1_lli
	.p2align	8
	.type	_ZL27rocblas_rotm_kernel_batchedILi512EPKPdPKPKdEviT0_lllS7_lllT1_lli,@function
_ZL27rocblas_rotm_kernel_batchedILi512EPKPdPKPKdEviT0_lllS7_lllT1_lli: ; @_ZL27rocblas_rotm_kernel_batchedILi512EPKPdPKPKdEviT0_lllS7_lllT1_lli
; %bb.0:
	s_mov_b32 s4, s3
	s_load_dword s12, s[0:1], 0x0
	s_load_dwordx4 s[8:11], s[0:1], 0x48
	s_load_dword s3, s[0:1], 0x74
	s_mov_b32 s5, 0
	s_lshl_b64 s[4:5], s[4:5], 3
	s_waitcnt lgkmcnt(0)
	s_ashr_i32 s13, s12, 31
	s_add_u32 s6, s8, s4
	s_addc_u32 s7, s9, s5
	s_load_dwordx2 s[6:7], s[6:7], 0x0
	s_lshl_b64 s[8:9], s[10:11], 3
	v_mov_b32_e32 v1, 0
	s_waitcnt lgkmcnt(0)
	s_add_u32 s6, s6, s8
	s_addc_u32 s7, s7, s9
	v_mov_b64_e32 v[2:3], s[6:7]
	flat_load_dwordx4 v[2:5], v[2:3]
	s_and_b32 s3, s3, 0xffff
	s_mul_i32 s2, s2, s3
	v_add_u32_e32 v0, s2, v0
	v_cmp_gt_i64_e32 vcc, s[12:13], v[0:1]
	s_waitcnt vmcnt(0) lgkmcnt(0)
	v_cmp_neq_f64_e64 s[2:3], -2.0, v[2:3]
	s_and_b64 s[2:3], s[2:3], vcc
	s_and_saveexec_b64 s[8:9], s[2:3]
	s_cbranch_execz .LBB6_10
; %bb.1:
	s_load_dwordx4 s[8:11], s[0:1], 0x28
	s_load_dwordx4 s[12:15], s[0:1], 0x8
	s_load_dwordx2 s[2:3], s[0:1], 0x18
	s_load_dwordx2 s[16:17], s[0:1], 0x38
	v_mov_b64_e32 v[10:11], s[6:7]
	s_waitcnt lgkmcnt(0)
	s_add_u32 s0, s8, s4
	s_addc_u32 s1, s9, s5
	s_load_dwordx2 s[0:1], s[0:1], 0x0
	s_lshl_b64 s[6:7], s[10:11], 3
	flat_load_dwordx4 v[6:9], v[10:11] offset:16
	flat_load_dwordx2 v[12:13], v[10:11] offset:32
	v_cmp_ngt_f64_e32 vcc, 0, v[2:3]
	s_waitcnt lgkmcnt(0)
	s_add_u32 s0, s0, s6
	s_addc_u32 s1, s1, s7
	s_add_u32 s4, s12, s4
	s_addc_u32 s5, s13, s5
	s_load_dwordx2 s[4:5], s[4:5], 0x0
	v_mad_u64_u32 v[10:11], s[6:7], s2, v0, 0
	v_mov_b32_e32 v14, v11
	v_mad_u64_u32 v[14:15], s[2:3], s3, v0, v[14:15]
	v_mad_u64_u32 v[18:19], s[2:3], s16, v0, 0
	s_lshl_b64 s[6:7], s[14:15], 3
	v_mov_b32_e32 v11, v14
	v_mov_b32_e32 v14, v19
	s_waitcnt lgkmcnt(0)
	s_add_u32 s4, s4, s6
	v_mad_u64_u32 v[0:1], s[2:3], s17, v0, v[14:15]
	s_addc_u32 s5, s5, s7
	v_mov_b32_e32 v19, v0
	v_lshl_add_u64 v[16:17], v[10:11], 3, s[4:5]
	v_lshl_add_u64 v[0:1], v[18:19], 3, s[0:1]
	flat_load_dwordx2 v[14:15], v[16:17]
	flat_load_dwordx2 v[10:11], v[0:1]
	s_and_saveexec_b64 s[0:1], vcc
	s_xor_b64 s[0:1], exec, s[0:1]
	s_cbranch_execz .LBB6_7
; %bb.2:
	v_cmp_neq_f64_e32 vcc, 0, v[2:3]
	s_and_saveexec_b64 s[2:3], vcc
	s_xor_b64 s[2:3], exec, s[2:3]
	s_cbranch_execz .LBB6_4
; %bb.3:
	s_waitcnt vmcnt(0) lgkmcnt(0)
	v_fma_f64 v[2:3], v[4:5], v[14:15], v[10:11]
	flat_store_dwordx2 v[16:17], v[2:3]
	v_fma_f64 v[10:11], v[12:13], v[10:11], -v[14:15]
                                        ; implicit-def: $vgpr8_vgpr9
                                        ; implicit-def: $vgpr14_vgpr15
                                        ; implicit-def: $vgpr16_vgpr17
.LBB6_4:
	s_andn2_saveexec_b64 s[2:3], s[2:3]
	s_cbranch_execz .LBB6_6
; %bb.5:
	s_waitcnt vmcnt(0) lgkmcnt(0)
	v_fma_f64 v[2:3], v[8:9], v[10:11], v[14:15]
	v_fmac_f64_e32 v[10:11], v[6:7], v[14:15]
	flat_store_dwordx2 v[16:17], v[2:3]
.LBB6_6:
	s_or_b64 exec, exec, s[2:3]
                                        ; implicit-def: $vgpr8_vgpr9
                                        ; implicit-def: $vgpr4_vgpr5
                                        ; implicit-def: $vgpr14_vgpr15
                                        ; implicit-def: $vgpr16_vgpr17
                                        ; implicit-def: $vgpr12_vgpr13
.LBB6_7:
	s_andn2_saveexec_b64 s[0:1], s[0:1]
	s_cbranch_execz .LBB6_9
; %bb.8:
	s_waitcnt vmcnt(0) lgkmcnt(0)
	v_mul_f64 v[2:3], v[8:9], v[10:11]
	v_mul_f64 v[10:11], v[12:13], v[10:11]
	v_fmac_f64_e32 v[2:3], v[4:5], v[14:15]
	v_fmac_f64_e32 v[10:11], v[6:7], v[14:15]
	flat_store_dwordx2 v[16:17], v[2:3]
.LBB6_9:
	s_or_b64 exec, exec, s[0:1]
	s_waitcnt vmcnt(0) lgkmcnt(0)
	flat_store_dwordx2 v[0:1], v[10:11]
.LBB6_10:
	s_endpgm
	.section	.rodata,"a",@progbits
	.p2align	6, 0x0
	.amdhsa_kernel _ZL27rocblas_rotm_kernel_batchedILi512EPKPdPKPKdEviT0_lllS7_lllT1_lli
		.amdhsa_group_segment_fixed_size 0
		.amdhsa_private_segment_fixed_size 0
		.amdhsa_kernarg_size 360
		.amdhsa_user_sgpr_count 2
		.amdhsa_user_sgpr_dispatch_ptr 0
		.amdhsa_user_sgpr_queue_ptr 0
		.amdhsa_user_sgpr_kernarg_segment_ptr 1
		.amdhsa_user_sgpr_dispatch_id 0
		.amdhsa_user_sgpr_kernarg_preload_length 0
		.amdhsa_user_sgpr_kernarg_preload_offset 0
		.amdhsa_user_sgpr_private_segment_size 0
		.amdhsa_uses_dynamic_stack 0
		.amdhsa_enable_private_segment 0
		.amdhsa_system_sgpr_workgroup_id_x 1
		.amdhsa_system_sgpr_workgroup_id_y 0
		.amdhsa_system_sgpr_workgroup_id_z 1
		.amdhsa_system_sgpr_workgroup_info 0
		.amdhsa_system_vgpr_workitem_id 0
		.amdhsa_next_free_vgpr 20
		.amdhsa_next_free_sgpr 18
		.amdhsa_accum_offset 20
		.amdhsa_reserve_vcc 1
		.amdhsa_float_round_mode_32 0
		.amdhsa_float_round_mode_16_64 0
		.amdhsa_float_denorm_mode_32 3
		.amdhsa_float_denorm_mode_16_64 3
		.amdhsa_dx10_clamp 1
		.amdhsa_ieee_mode 1
		.amdhsa_fp16_overflow 0
		.amdhsa_tg_split 0
		.amdhsa_exception_fp_ieee_invalid_op 0
		.amdhsa_exception_fp_denorm_src 0
		.amdhsa_exception_fp_ieee_div_zero 0
		.amdhsa_exception_fp_ieee_overflow 0
		.amdhsa_exception_fp_ieee_underflow 0
		.amdhsa_exception_fp_ieee_inexact 0
		.amdhsa_exception_int_div_zero 0
	.end_amdhsa_kernel
	.section	.text._ZL27rocblas_rotm_kernel_batchedILi512EPKPdPKPKdEviT0_lllS7_lllT1_lli,"axG",@progbits,_ZL27rocblas_rotm_kernel_batchedILi512EPKPdPKPKdEviT0_lllS7_lllT1_lli,comdat
.Lfunc_end6:
	.size	_ZL27rocblas_rotm_kernel_batchedILi512EPKPdPKPKdEviT0_lllS7_lllT1_lli, .Lfunc_end6-_ZL27rocblas_rotm_kernel_batchedILi512EPKPdPKPKdEviT0_lllS7_lllT1_lli
                                        ; -- End function
	.set _ZL27rocblas_rotm_kernel_batchedILi512EPKPdPKPKdEviT0_lllS7_lllT1_lli.num_vgpr, 20
	.set _ZL27rocblas_rotm_kernel_batchedILi512EPKPdPKPKdEviT0_lllS7_lllT1_lli.num_agpr, 0
	.set _ZL27rocblas_rotm_kernel_batchedILi512EPKPdPKPKdEviT0_lllS7_lllT1_lli.numbered_sgpr, 18
	.set _ZL27rocblas_rotm_kernel_batchedILi512EPKPdPKPKdEviT0_lllS7_lllT1_lli.num_named_barrier, 0
	.set _ZL27rocblas_rotm_kernel_batchedILi512EPKPdPKPKdEviT0_lllS7_lllT1_lli.private_seg_size, 0
	.set _ZL27rocblas_rotm_kernel_batchedILi512EPKPdPKPKdEviT0_lllS7_lllT1_lli.uses_vcc, 1
	.set _ZL27rocblas_rotm_kernel_batchedILi512EPKPdPKPKdEviT0_lllS7_lllT1_lli.uses_flat_scratch, 0
	.set _ZL27rocblas_rotm_kernel_batchedILi512EPKPdPKPKdEviT0_lllS7_lllT1_lli.has_dyn_sized_stack, 0
	.set _ZL27rocblas_rotm_kernel_batchedILi512EPKPdPKPKdEviT0_lllS7_lllT1_lli.has_recursion, 0
	.set _ZL27rocblas_rotm_kernel_batchedILi512EPKPdPKPKdEviT0_lllS7_lllT1_lli.has_indirect_call, 0
	.section	.AMDGPU.csdata,"",@progbits
; Kernel info:
; codeLenInByte = 496
; TotalNumSgprs: 24
; NumVgprs: 20
; NumAgprs: 0
; TotalNumVgprs: 20
; ScratchSize: 0
; MemoryBound: 0
; FloatMode: 240
; IeeeMode: 1
; LDSByteSize: 0 bytes/workgroup (compile time only)
; SGPRBlocks: 2
; VGPRBlocks: 2
; NumSGPRsForWavesPerEU: 24
; NumVGPRsForWavesPerEU: 20
; AccumOffset: 20
; Occupancy: 8
; WaveLimiterHint : 1
; COMPUTE_PGM_RSRC2:SCRATCH_EN: 0
; COMPUTE_PGM_RSRC2:USER_SGPR: 2
; COMPUTE_PGM_RSRC2:TRAP_HANDLER: 0
; COMPUTE_PGM_RSRC2:TGID_X_EN: 1
; COMPUTE_PGM_RSRC2:TGID_Y_EN: 0
; COMPUTE_PGM_RSRC2:TGID_Z_EN: 1
; COMPUTE_PGM_RSRC2:TIDIG_COMP_CNT: 0
; COMPUTE_PGM_RSRC3_GFX90A:ACCUM_OFFSET: 4
; COMPUTE_PGM_RSRC3_GFX90A:TG_SPLIT: 0
	.section	.text._ZL27rocblas_rotm_kernel_regularILi512EKPdPKdEviPT0_lllS5_lllT1_S6_S6_S6_S6_,"axG",@progbits,_ZL27rocblas_rotm_kernel_regularILi512EKPdPKdEviPT0_lllS5_lllT1_S6_S6_S6_S6_,comdat
	.globl	_ZL27rocblas_rotm_kernel_regularILi512EKPdPKdEviPT0_lllS5_lllT1_S6_S6_S6_S6_ ; -- Begin function _ZL27rocblas_rotm_kernel_regularILi512EKPdPKdEviPT0_lllS5_lllT1_S6_S6_S6_S6_
	.p2align	8
	.type	_ZL27rocblas_rotm_kernel_regularILi512EKPdPKdEviPT0_lllS5_lllT1_S6_S6_S6_S6_,@function
_ZL27rocblas_rotm_kernel_regularILi512EKPdPKdEviPT0_lllS5_lllT1_S6_S6_S6_S6_: ; @_ZL27rocblas_rotm_kernel_regularILi512EKPdPKdEviPT0_lllS5_lllT1_S6_S6_S6_S6_
; %bb.0:
	s_load_dword s12, s[0:1], 0x0
	s_load_dwordx8 s[4:11], s[0:1], 0x48
	s_load_dword s3, s[0:1], 0x7c
	v_mov_b32_e32 v1, 0
	s_waitcnt lgkmcnt(0)
	s_ashr_i32 s13, s12, 31
	s_load_dwordx2 s[4:5], s[4:5], 0x0
	s_and_b32 s3, s3, 0xffff
	s_mul_i32 s2, s2, s3
	v_add_u32_e32 v0, s2, v0
	v_cmp_gt_i64_e32 vcc, s[12:13], v[0:1]
	s_waitcnt lgkmcnt(0)
	v_cmp_neq_f64_e64 s[2:3], s[4:5], -2.0
	s_and_b64 s[2:3], s[2:3], vcc
	s_and_saveexec_b64 s[12:13], s[2:3]
	s_cbranch_execz .LBB7_9
; %bb.1:
	s_load_dwordx4 s[12:15], s[0:1], 0x28
	s_load_dwordx4 s[16:19], s[0:1], 0x8
	s_load_dwordx2 s[2:3], s[0:1], 0x18
	s_load_dwordx2 s[20:21], s[0:1], 0x38
	s_waitcnt lgkmcnt(0)
	s_lshl_b64 s[14:15], s[14:15], 3
	s_load_dwordx2 s[12:13], s[12:13], 0x0
	v_mad_u64_u32 v[2:3], s[22:23], s2, v0, 0
	s_load_dwordx2 s[16:17], s[16:17], 0x0
	v_mov_b32_e32 v4, v3
	s_waitcnt lgkmcnt(0)
	s_add_u32 s12, s12, s14
	v_mad_u64_u32 v[4:5], s[2:3], s3, v0, v[4:5]
	v_mad_u64_u32 v[6:7], s[2:3], s20, v0, 0
	s_addc_u32 s13, s13, s15
	s_lshl_b64 s[14:15], s[18:19], 3
	v_mov_b32_e32 v3, v4
	v_mov_b32_e32 v4, v7
	s_add_u32 s14, s16, s14
	v_mad_u64_u32 v[0:1], s[2:3], s21, v0, v[4:5]
	s_addc_u32 s15, s17, s15
	v_mov_b32_e32 v7, v0
	v_lshl_add_u64 v[4:5], v[2:3], 3, s[14:15]
	v_lshl_add_u64 v[0:1], v[6:7], 3, s[12:13]
	flat_load_dwordx2 v[2:3], v[4:5]
	flat_load_dwordx2 v[6:7], v[0:1]
	s_load_dwordx2 s[16:17], s[0:1], 0x68
	s_load_dwordx2 s[12:13], s[6:7], 0x0
	s_load_dwordx2 s[2:3], s[8:9], 0x0
	s_load_dwordx2 s[14:15], s[10:11], 0x0
	v_cmp_nlt_f64_e64 s[6:7], s[4:5], 0
	s_waitcnt lgkmcnt(0)
	s_load_dwordx2 s[0:1], s[16:17], 0x0
	s_and_b64 vcc, exec, s[6:7]
	s_cbranch_vccz .LBB7_6
; %bb.2:
	v_cmp_neq_f64_e64 s[4:5], s[4:5], 0
	s_mov_b64 s[6:7], 0
	s_and_b64 vcc, exec, s[4:5]
	s_cbranch_vccz .LBB7_10
; %bb.3:
	s_waitcnt vmcnt(0)
	v_fma_f64 v[8:9], s[12:13], v[2:3], v[6:7]
	flat_store_dwordx2 v[4:5], v[8:9]
	s_waitcnt lgkmcnt(0)
	v_fma_f64 v[8:9], s[0:1], v[6:7], -v[2:3]
	s_andn2_b64 vcc, exec, s[6:7]
	s_cbranch_vccnz .LBB7_5
.LBB7_4:
	s_waitcnt vmcnt(0)
	v_fma_f64 v[8:9], s[14:15], v[6:7], v[2:3]
	flat_store_dwordx2 v[4:5], v[8:9]
	v_fma_f64 v[8:9], s[2:3], v[2:3], v[6:7]
.LBB7_5:
	s_cbranch_execz .LBB7_7
	s_branch .LBB7_8
.LBB7_6:
                                        ; implicit-def: $vgpr8_vgpr9
.LBB7_7:
	s_waitcnt vmcnt(0)
	v_mul_f64 v[8:9], s[14:15], v[6:7]
	v_fmac_f64_e32 v[8:9], s[12:13], v[2:3]
	flat_store_dwordx2 v[4:5], v[8:9]
	s_waitcnt lgkmcnt(0)
	v_mul_f64 v[8:9], s[0:1], v[6:7]
	v_fmac_f64_e32 v[8:9], s[2:3], v[2:3]
.LBB7_8:
	flat_store_dwordx2 v[0:1], v[8:9]
.LBB7_9:
	s_endpgm
.LBB7_10:
                                        ; implicit-def: $vgpr8_vgpr9
	s_branch .LBB7_4
	.section	.rodata,"a",@progbits
	.p2align	6, 0x0
	.amdhsa_kernel _ZL27rocblas_rotm_kernel_regularILi512EKPdPKdEviPT0_lllS5_lllT1_S6_S6_S6_S6_
		.amdhsa_group_segment_fixed_size 0
		.amdhsa_private_segment_fixed_size 0
		.amdhsa_kernarg_size 368
		.amdhsa_user_sgpr_count 2
		.amdhsa_user_sgpr_dispatch_ptr 0
		.amdhsa_user_sgpr_queue_ptr 0
		.amdhsa_user_sgpr_kernarg_segment_ptr 1
		.amdhsa_user_sgpr_dispatch_id 0
		.amdhsa_user_sgpr_kernarg_preload_length 0
		.amdhsa_user_sgpr_kernarg_preload_offset 0
		.amdhsa_user_sgpr_private_segment_size 0
		.amdhsa_uses_dynamic_stack 0
		.amdhsa_enable_private_segment 0
		.amdhsa_system_sgpr_workgroup_id_x 1
		.amdhsa_system_sgpr_workgroup_id_y 0
		.amdhsa_system_sgpr_workgroup_id_z 0
		.amdhsa_system_sgpr_workgroup_info 0
		.amdhsa_system_vgpr_workitem_id 0
		.amdhsa_next_free_vgpr 10
		.amdhsa_next_free_sgpr 24
		.amdhsa_accum_offset 12
		.amdhsa_reserve_vcc 1
		.amdhsa_float_round_mode_32 0
		.amdhsa_float_round_mode_16_64 0
		.amdhsa_float_denorm_mode_32 3
		.amdhsa_float_denorm_mode_16_64 3
		.amdhsa_dx10_clamp 1
		.amdhsa_ieee_mode 1
		.amdhsa_fp16_overflow 0
		.amdhsa_tg_split 0
		.amdhsa_exception_fp_ieee_invalid_op 0
		.amdhsa_exception_fp_denorm_src 0
		.amdhsa_exception_fp_ieee_div_zero 0
		.amdhsa_exception_fp_ieee_overflow 0
		.amdhsa_exception_fp_ieee_underflow 0
		.amdhsa_exception_fp_ieee_inexact 0
		.amdhsa_exception_int_div_zero 0
	.end_amdhsa_kernel
	.section	.text._ZL27rocblas_rotm_kernel_regularILi512EKPdPKdEviPT0_lllS5_lllT1_S6_S6_S6_S6_,"axG",@progbits,_ZL27rocblas_rotm_kernel_regularILi512EKPdPKdEviPT0_lllS5_lllT1_S6_S6_S6_S6_,comdat
.Lfunc_end7:
	.size	_ZL27rocblas_rotm_kernel_regularILi512EKPdPKdEviPT0_lllS5_lllT1_S6_S6_S6_S6_, .Lfunc_end7-_ZL27rocblas_rotm_kernel_regularILi512EKPdPKdEviPT0_lllS5_lllT1_S6_S6_S6_S6_
                                        ; -- End function
	.set _ZL27rocblas_rotm_kernel_regularILi512EKPdPKdEviPT0_lllS5_lllT1_S6_S6_S6_S6_.num_vgpr, 10
	.set _ZL27rocblas_rotm_kernel_regularILi512EKPdPKdEviPT0_lllS5_lllT1_S6_S6_S6_S6_.num_agpr, 0
	.set _ZL27rocblas_rotm_kernel_regularILi512EKPdPKdEviPT0_lllS5_lllT1_S6_S6_S6_S6_.numbered_sgpr, 24
	.set _ZL27rocblas_rotm_kernel_regularILi512EKPdPKdEviPT0_lllS5_lllT1_S6_S6_S6_S6_.num_named_barrier, 0
	.set _ZL27rocblas_rotm_kernel_regularILi512EKPdPKdEviPT0_lllS5_lllT1_S6_S6_S6_S6_.private_seg_size, 0
	.set _ZL27rocblas_rotm_kernel_regularILi512EKPdPKdEviPT0_lllS5_lllT1_S6_S6_S6_S6_.uses_vcc, 1
	.set _ZL27rocblas_rotm_kernel_regularILi512EKPdPKdEviPT0_lllS5_lllT1_S6_S6_S6_S6_.uses_flat_scratch, 0
	.set _ZL27rocblas_rotm_kernel_regularILi512EKPdPKdEviPT0_lllS5_lllT1_S6_S6_S6_S6_.has_dyn_sized_stack, 0
	.set _ZL27rocblas_rotm_kernel_regularILi512EKPdPKdEviPT0_lllS5_lllT1_S6_S6_S6_S6_.has_recursion, 0
	.set _ZL27rocblas_rotm_kernel_regularILi512EKPdPKdEviPT0_lllS5_lllT1_S6_S6_S6_S6_.has_indirect_call, 0
	.section	.AMDGPU.csdata,"",@progbits
; Kernel info:
; codeLenInByte = 460
; TotalNumSgprs: 30
; NumVgprs: 10
; NumAgprs: 0
; TotalNumVgprs: 10
; ScratchSize: 0
; MemoryBound: 0
; FloatMode: 240
; IeeeMode: 1
; LDSByteSize: 0 bytes/workgroup (compile time only)
; SGPRBlocks: 3
; VGPRBlocks: 1
; NumSGPRsForWavesPerEU: 30
; NumVGPRsForWavesPerEU: 10
; AccumOffset: 12
; Occupancy: 8
; WaveLimiterHint : 1
; COMPUTE_PGM_RSRC2:SCRATCH_EN: 0
; COMPUTE_PGM_RSRC2:USER_SGPR: 2
; COMPUTE_PGM_RSRC2:TRAP_HANDLER: 0
; COMPUTE_PGM_RSRC2:TGID_X_EN: 1
; COMPUTE_PGM_RSRC2:TGID_Y_EN: 0
; COMPUTE_PGM_RSRC2:TGID_Z_EN: 0
; COMPUTE_PGM_RSRC2:TIDIG_COMP_CNT: 0
; COMPUTE_PGM_RSRC3_GFX90A:ACCUM_OFFSET: 2
; COMPUTE_PGM_RSRC3_GFX90A:TG_SPLIT: 0
	.section	.AMDGPU.gpr_maximums,"",@progbits
	.set amdgpu.max_num_vgpr, 0
	.set amdgpu.max_num_agpr, 0
	.set amdgpu.max_num_sgpr, 0
	.section	.AMDGPU.csdata,"",@progbits
	.type	__hip_cuid_da9748d5958056cb,@object ; @__hip_cuid_da9748d5958056cb
	.section	.bss,"aw",@nobits
	.globl	__hip_cuid_da9748d5958056cb
__hip_cuid_da9748d5958056cb:
	.byte	0                               ; 0x0
	.size	__hip_cuid_da9748d5958056cb, 1

	.ident	"AMD clang version 22.0.0git (https://github.com/RadeonOpenCompute/llvm-project roc-7.2.4 26084 f58b06dce1f9c15707c5f808fd002e18c2accf7e)"
	.section	".note.GNU-stack","",@progbits
	.addrsig
	.addrsig_sym __hip_cuid_da9748d5958056cb
	.amdgpu_metadata
---
amdhsa.kernels:
  - .agpr_count:     0
    .args:
      - .offset:         0
        .size:           4
        .value_kind:     by_value
      - .address_space:  global
        .offset:         8
        .size:           8
        .value_kind:     global_buffer
      - .offset:         16
        .size:           8
        .value_kind:     by_value
      - .offset:         24
        .size:           8
        .value_kind:     by_value
      - .offset:         32
        .size:           8
        .value_kind:     by_value
      - .address_space:  global
        .offset:         40
        .size:           8
        .value_kind:     global_buffer
      - .offset:         48
        .size:           8
        .value_kind:     by_value
      - .offset:         56
        .size:           8
        .value_kind:     by_value
      - .offset:         64
        .size:           8
        .value_kind:     by_value
      - .address_space:  global
        .offset:         72
        .size:           8
        .value_kind:     global_buffer
      - .offset:         80
        .size:           8
        .value_kind:     by_value
      - .offset:         88
        .size:           8
        .value_kind:     by_value
      - .offset:         96
        .size:           4
        .value_kind:     by_value
      - .offset:         104
        .size:           4
        .value_kind:     hidden_block_count_x
      - .offset:         108
        .size:           4
        .value_kind:     hidden_block_count_y
      - .offset:         112
        .size:           4
        .value_kind:     hidden_block_count_z
      - .offset:         116
        .size:           2
        .value_kind:     hidden_group_size_x
      - .offset:         118
        .size:           2
        .value_kind:     hidden_group_size_y
      - .offset:         120
        .size:           2
        .value_kind:     hidden_group_size_z
      - .offset:         122
        .size:           2
        .value_kind:     hidden_remainder_x
      - .offset:         124
        .size:           2
        .value_kind:     hidden_remainder_y
      - .offset:         126
        .size:           2
        .value_kind:     hidden_remainder_z
      - .offset:         144
        .size:           8
        .value_kind:     hidden_global_offset_x
      - .offset:         152
        .size:           8
        .value_kind:     hidden_global_offset_y
      - .offset:         160
        .size:           8
        .value_kind:     hidden_global_offset_z
      - .offset:         168
        .size:           2
        .value_kind:     hidden_grid_dims
    .group_segment_fixed_size: 0
    .kernarg_segment_align: 8
    .kernarg_segment_size: 360
    .language:       OpenCL C
    .language_version:
      - 2
      - 0
    .max_flat_workgroup_size: 512
    .name:           _ZL27rocblas_rotm_kernel_batchedILi512EPfPKfEviT0_lllS3_lllT1_lli
    .private_segment_fixed_size: 0
    .sgpr_count:     32
    .sgpr_spill_count: 0
    .symbol:         _ZL27rocblas_rotm_kernel_batchedILi512EPfPKfEviT0_lllS3_lllT1_lli.kd
    .uniform_work_group_size: 1
    .uses_dynamic_stack: false
    .vgpr_count:     8
    .vgpr_spill_count: 0
    .wavefront_size: 64
  - .agpr_count:     0
    .args:
      - .offset:         0
        .size:           4
        .value_kind:     by_value
      - .address_space:  global
        .offset:         8
        .size:           8
        .value_kind:     global_buffer
      - .offset:         16
        .size:           8
        .value_kind:     by_value
      - .offset:         24
        .size:           8
        .value_kind:     by_value
      - .offset:         32
        .size:           8
        .value_kind:     by_value
      - .address_space:  global
        .offset:         40
        .size:           8
        .value_kind:     global_buffer
      - .offset:         48
        .size:           8
        .value_kind:     by_value
      - .offset:         56
        .size:           8
        .value_kind:     by_value
      - .offset:         64
        .size:           8
        .value_kind:     by_value
      - .offset:         72
        .size:           4
        .value_kind:     by_value
      - .offset:         76
        .size:           4
        .value_kind:     by_value
      - .offset:         80
        .size:           4
        .value_kind:     by_value
      - .offset:         84
        .size:           4
        .value_kind:     by_value
      - .offset:         88
        .size:           4
        .value_kind:     by_value
      - .offset:         96
        .size:           4
        .value_kind:     hidden_block_count_x
      - .offset:         100
        .size:           4
        .value_kind:     hidden_block_count_y
      - .offset:         104
        .size:           4
        .value_kind:     hidden_block_count_z
      - .offset:         108
        .size:           2
        .value_kind:     hidden_group_size_x
      - .offset:         110
        .size:           2
        .value_kind:     hidden_group_size_y
      - .offset:         112
        .size:           2
        .value_kind:     hidden_group_size_z
      - .offset:         114
        .size:           2
        .value_kind:     hidden_remainder_x
      - .offset:         116
        .size:           2
        .value_kind:     hidden_remainder_y
      - .offset:         118
        .size:           2
        .value_kind:     hidden_remainder_z
      - .offset:         136
        .size:           8
        .value_kind:     hidden_global_offset_x
      - .offset:         144
        .size:           8
        .value_kind:     hidden_global_offset_y
      - .offset:         152
        .size:           8
        .value_kind:     hidden_global_offset_z
      - .offset:         160
        .size:           2
        .value_kind:     hidden_grid_dims
    .group_segment_fixed_size: 0
    .kernarg_segment_align: 8
    .kernarg_segment_size: 352
    .language:       OpenCL C
    .language_version:
      - 2
      - 0
    .max_flat_workgroup_size: 512
    .name:           _ZL27rocblas_rotm_kernel_regularILi512EffEviPT0_lllS1_lllT1_S2_S2_S2_S2_
    .private_segment_fixed_size: 0
    .sgpr_count:     24
    .sgpr_spill_count: 0
    .symbol:         _ZL27rocblas_rotm_kernel_regularILi512EffEviPT0_lllS1_lllT1_S2_S2_S2_S2_.kd
    .uniform_work_group_size: 1
    .uses_dynamic_stack: false
    .vgpr_count:     8
    .vgpr_spill_count: 0
    .wavefront_size: 64
  - .agpr_count:     0
    .args:
      - .offset:         0
        .size:           4
        .value_kind:     by_value
      - .address_space:  global
        .offset:         8
        .size:           8
        .value_kind:     global_buffer
      - .offset:         16
        .size:           8
        .value_kind:     by_value
      - .offset:         24
        .size:           8
        .value_kind:     by_value
      - .offset:         32
        .size:           8
        .value_kind:     by_value
      - .address_space:  global
        .offset:         40
        .size:           8
        .value_kind:     global_buffer
      - .offset:         48
        .size:           8
        .value_kind:     by_value
      - .offset:         56
        .size:           8
        .value_kind:     by_value
      - .offset:         64
        .size:           8
        .value_kind:     by_value
      - .address_space:  global
        .offset:         72
        .size:           8
        .value_kind:     global_buffer
      - .offset:         80
        .size:           8
        .value_kind:     by_value
      - .offset:         88
        .size:           8
        .value_kind:     by_value
      - .offset:         96
        .size:           4
        .value_kind:     by_value
      - .offset:         104
        .size:           4
        .value_kind:     hidden_block_count_x
      - .offset:         108
        .size:           4
        .value_kind:     hidden_block_count_y
      - .offset:         112
        .size:           4
        .value_kind:     hidden_block_count_z
      - .offset:         116
        .size:           2
        .value_kind:     hidden_group_size_x
      - .offset:         118
        .size:           2
        .value_kind:     hidden_group_size_y
      - .offset:         120
        .size:           2
        .value_kind:     hidden_group_size_z
      - .offset:         122
        .size:           2
        .value_kind:     hidden_remainder_x
      - .offset:         124
        .size:           2
        .value_kind:     hidden_remainder_y
      - .offset:         126
        .size:           2
        .value_kind:     hidden_remainder_z
      - .offset:         144
        .size:           8
        .value_kind:     hidden_global_offset_x
      - .offset:         152
        .size:           8
        .value_kind:     hidden_global_offset_y
      - .offset:         160
        .size:           8
        .value_kind:     hidden_global_offset_z
      - .offset:         168
        .size:           2
        .value_kind:     hidden_grid_dims
    .group_segment_fixed_size: 0
    .kernarg_segment_align: 8
    .kernarg_segment_size: 360
    .language:       OpenCL C
    .language_version:
      - 2
      - 0
    .max_flat_workgroup_size: 512
    .name:           _ZL27rocblas_rotm_kernel_batchedILi512EPdPKdEviT0_lllS3_lllT1_lli
    .private_segment_fixed_size: 0
    .sgpr_count:     36
    .sgpr_spill_count: 0
    .symbol:         _ZL27rocblas_rotm_kernel_batchedILi512EPdPKdEviT0_lllS3_lllT1_lli.kd
    .uniform_work_group_size: 1
    .uses_dynamic_stack: false
    .vgpr_count:     10
    .vgpr_spill_count: 0
    .wavefront_size: 64
  - .agpr_count:     0
    .args:
      - .offset:         0
        .size:           4
        .value_kind:     by_value
      - .address_space:  global
        .offset:         8
        .size:           8
        .value_kind:     global_buffer
      - .offset:         16
        .size:           8
        .value_kind:     by_value
      - .offset:         24
        .size:           8
        .value_kind:     by_value
      - .offset:         32
        .size:           8
        .value_kind:     by_value
      - .address_space:  global
        .offset:         40
        .size:           8
        .value_kind:     global_buffer
      - .offset:         48
        .size:           8
        .value_kind:     by_value
      - .offset:         56
        .size:           8
        .value_kind:     by_value
      - .offset:         64
        .size:           8
        .value_kind:     by_value
      - .offset:         72
        .size:           8
        .value_kind:     by_value
      - .offset:         80
        .size:           8
        .value_kind:     by_value
      - .offset:         88
        .size:           8
        .value_kind:     by_value
      - .offset:         96
        .size:           8
        .value_kind:     by_value
      - .offset:         104
        .size:           8
        .value_kind:     by_value
      - .offset:         112
        .size:           4
        .value_kind:     hidden_block_count_x
      - .offset:         116
        .size:           4
        .value_kind:     hidden_block_count_y
      - .offset:         120
        .size:           4
        .value_kind:     hidden_block_count_z
      - .offset:         124
        .size:           2
        .value_kind:     hidden_group_size_x
      - .offset:         126
        .size:           2
        .value_kind:     hidden_group_size_y
      - .offset:         128
        .size:           2
        .value_kind:     hidden_group_size_z
      - .offset:         130
        .size:           2
        .value_kind:     hidden_remainder_x
      - .offset:         132
        .size:           2
        .value_kind:     hidden_remainder_y
      - .offset:         134
        .size:           2
        .value_kind:     hidden_remainder_z
      - .offset:         152
        .size:           8
        .value_kind:     hidden_global_offset_x
      - .offset:         160
        .size:           8
        .value_kind:     hidden_global_offset_y
      - .offset:         168
        .size:           8
        .value_kind:     hidden_global_offset_z
      - .offset:         176
        .size:           2
        .value_kind:     hidden_grid_dims
    .group_segment_fixed_size: 0
    .kernarg_segment_align: 8
    .kernarg_segment_size: 368
    .language:       OpenCL C
    .language_version:
      - 2
      - 0
    .max_flat_workgroup_size: 512
    .name:           _ZL27rocblas_rotm_kernel_regularILi512EddEviPT0_lllS1_lllT1_S2_S2_S2_S2_
    .private_segment_fixed_size: 0
    .sgpr_count:     28
    .sgpr_spill_count: 0
    .symbol:         _ZL27rocblas_rotm_kernel_regularILi512EddEviPT0_lllS1_lllT1_S2_S2_S2_S2_.kd
    .uniform_work_group_size: 1
    .uses_dynamic_stack: false
    .vgpr_count:     10
    .vgpr_spill_count: 0
    .wavefront_size: 64
  - .agpr_count:     0
    .args:
      - .offset:         0
        .size:           4
        .value_kind:     by_value
      - .address_space:  global
        .offset:         8
        .size:           8
        .value_kind:     global_buffer
      - .offset:         16
        .size:           8
        .value_kind:     by_value
      - .offset:         24
        .size:           8
        .value_kind:     by_value
      - .offset:         32
        .size:           8
        .value_kind:     by_value
      - .address_space:  global
        .offset:         40
        .size:           8
        .value_kind:     global_buffer
      - .offset:         48
        .size:           8
        .value_kind:     by_value
      - .offset:         56
        .size:           8
        .value_kind:     by_value
      - .offset:         64
        .size:           8
        .value_kind:     by_value
      - .address_space:  global
        .offset:         72
        .size:           8
        .value_kind:     global_buffer
      - .offset:         80
        .size:           8
        .value_kind:     by_value
      - .offset:         88
        .size:           8
        .value_kind:     by_value
      - .offset:         96
        .size:           4
        .value_kind:     by_value
      - .offset:         104
        .size:           4
        .value_kind:     hidden_block_count_x
      - .offset:         108
        .size:           4
        .value_kind:     hidden_block_count_y
      - .offset:         112
        .size:           4
        .value_kind:     hidden_block_count_z
      - .offset:         116
        .size:           2
        .value_kind:     hidden_group_size_x
      - .offset:         118
        .size:           2
        .value_kind:     hidden_group_size_y
      - .offset:         120
        .size:           2
        .value_kind:     hidden_group_size_z
      - .offset:         122
        .size:           2
        .value_kind:     hidden_remainder_x
      - .offset:         124
        .size:           2
        .value_kind:     hidden_remainder_y
      - .offset:         126
        .size:           2
        .value_kind:     hidden_remainder_z
      - .offset:         144
        .size:           8
        .value_kind:     hidden_global_offset_x
      - .offset:         152
        .size:           8
        .value_kind:     hidden_global_offset_y
      - .offset:         160
        .size:           8
        .value_kind:     hidden_global_offset_z
      - .offset:         168
        .size:           2
        .value_kind:     hidden_grid_dims
    .group_segment_fixed_size: 0
    .kernarg_segment_align: 8
    .kernarg_segment_size: 360
    .language:       OpenCL C
    .language_version:
      - 2
      - 0
    .max_flat_workgroup_size: 512
    .name:           _ZL27rocblas_rotm_kernel_batchedILi512EPKPfPKPKfEviT0_lllS7_lllT1_lli
    .private_segment_fixed_size: 0
    .sgpr_count:     24
    .sgpr_spill_count: 0
    .symbol:         _ZL27rocblas_rotm_kernel_batchedILi512EPKPfPKPKfEviT0_lllS7_lllT1_lli.kd
    .uniform_work_group_size: 1
    .uses_dynamic_stack: false
    .vgpr_count:     14
    .vgpr_spill_count: 0
    .wavefront_size: 64
  - .agpr_count:     0
    .args:
      - .offset:         0
        .size:           4
        .value_kind:     by_value
      - .address_space:  global
        .offset:         8
        .size:           8
        .value_kind:     global_buffer
      - .offset:         16
        .size:           8
        .value_kind:     by_value
      - .offset:         24
        .size:           8
        .value_kind:     by_value
      - .offset:         32
        .size:           8
        .value_kind:     by_value
      - .address_space:  global
        .offset:         40
        .size:           8
        .value_kind:     global_buffer
      - .offset:         48
        .size:           8
        .value_kind:     by_value
      - .offset:         56
        .size:           8
        .value_kind:     by_value
      - .offset:         64
        .size:           8
        .value_kind:     by_value
      - .address_space:  global
        .offset:         72
        .size:           8
        .value_kind:     global_buffer
      - .address_space:  global
        .offset:         80
        .size:           8
        .value_kind:     global_buffer
      - .address_space:  global
        .offset:         88
        .size:           8
        .value_kind:     global_buffer
      - .address_space:  global
        .offset:         96
        .size:           8
        .value_kind:     global_buffer
      - .address_space:  global
        .offset:         104
        .size:           8
        .value_kind:     global_buffer
      - .offset:         112
        .size:           4
        .value_kind:     hidden_block_count_x
      - .offset:         116
        .size:           4
        .value_kind:     hidden_block_count_y
      - .offset:         120
        .size:           4
        .value_kind:     hidden_block_count_z
      - .offset:         124
        .size:           2
        .value_kind:     hidden_group_size_x
      - .offset:         126
        .size:           2
        .value_kind:     hidden_group_size_y
      - .offset:         128
        .size:           2
        .value_kind:     hidden_group_size_z
      - .offset:         130
        .size:           2
        .value_kind:     hidden_remainder_x
      - .offset:         132
        .size:           2
        .value_kind:     hidden_remainder_y
      - .offset:         134
        .size:           2
        .value_kind:     hidden_remainder_z
      - .offset:         152
        .size:           8
        .value_kind:     hidden_global_offset_x
      - .offset:         160
        .size:           8
        .value_kind:     hidden_global_offset_y
      - .offset:         168
        .size:           8
        .value_kind:     hidden_global_offset_z
      - .offset:         176
        .size:           2
        .value_kind:     hidden_grid_dims
    .group_segment_fixed_size: 0
    .kernarg_segment_align: 8
    .kernarg_segment_size: 368
    .language:       OpenCL C
    .language_version:
      - 2
      - 0
    .max_flat_workgroup_size: 512
    .name:           _ZL27rocblas_rotm_kernel_regularILi512EKPfPKfEviPT0_lllS5_lllT1_S6_S6_S6_S6_
    .private_segment_fixed_size: 0
    .sgpr_count:     30
    .sgpr_spill_count: 0
    .symbol:         _ZL27rocblas_rotm_kernel_regularILi512EKPfPKfEviPT0_lllS5_lllT1_S6_S6_S6_S6_.kd
    .uniform_work_group_size: 1
    .uses_dynamic_stack: false
    .vgpr_count:     8
    .vgpr_spill_count: 0
    .wavefront_size: 64
  - .agpr_count:     0
    .args:
      - .offset:         0
        .size:           4
        .value_kind:     by_value
      - .address_space:  global
        .offset:         8
        .size:           8
        .value_kind:     global_buffer
      - .offset:         16
        .size:           8
        .value_kind:     by_value
      - .offset:         24
        .size:           8
        .value_kind:     by_value
      - .offset:         32
        .size:           8
        .value_kind:     by_value
      - .address_space:  global
        .offset:         40
        .size:           8
        .value_kind:     global_buffer
      - .offset:         48
        .size:           8
        .value_kind:     by_value
      - .offset:         56
        .size:           8
        .value_kind:     by_value
      - .offset:         64
        .size:           8
        .value_kind:     by_value
      - .address_space:  global
        .offset:         72
        .size:           8
        .value_kind:     global_buffer
      - .offset:         80
        .size:           8
        .value_kind:     by_value
      - .offset:         88
        .size:           8
        .value_kind:     by_value
      - .offset:         96
        .size:           4
        .value_kind:     by_value
      - .offset:         104
        .size:           4
        .value_kind:     hidden_block_count_x
      - .offset:         108
        .size:           4
        .value_kind:     hidden_block_count_y
      - .offset:         112
        .size:           4
        .value_kind:     hidden_block_count_z
      - .offset:         116
        .size:           2
        .value_kind:     hidden_group_size_x
      - .offset:         118
        .size:           2
        .value_kind:     hidden_group_size_y
      - .offset:         120
        .size:           2
        .value_kind:     hidden_group_size_z
      - .offset:         122
        .size:           2
        .value_kind:     hidden_remainder_x
      - .offset:         124
        .size:           2
        .value_kind:     hidden_remainder_y
      - .offset:         126
        .size:           2
        .value_kind:     hidden_remainder_z
      - .offset:         144
        .size:           8
        .value_kind:     hidden_global_offset_x
      - .offset:         152
        .size:           8
        .value_kind:     hidden_global_offset_y
      - .offset:         160
        .size:           8
        .value_kind:     hidden_global_offset_z
      - .offset:         168
        .size:           2
        .value_kind:     hidden_grid_dims
    .group_segment_fixed_size: 0
    .kernarg_segment_align: 8
    .kernarg_segment_size: 360
    .language:       OpenCL C
    .language_version:
      - 2
      - 0
    .max_flat_workgroup_size: 512
    .name:           _ZL27rocblas_rotm_kernel_batchedILi512EPKPdPKPKdEviT0_lllS7_lllT1_lli
    .private_segment_fixed_size: 0
    .sgpr_count:     24
    .sgpr_spill_count: 0
    .symbol:         _ZL27rocblas_rotm_kernel_batchedILi512EPKPdPKPKdEviT0_lllS7_lllT1_lli.kd
    .uniform_work_group_size: 1
    .uses_dynamic_stack: false
    .vgpr_count:     20
    .vgpr_spill_count: 0
    .wavefront_size: 64
  - .agpr_count:     0
    .args:
      - .offset:         0
        .size:           4
        .value_kind:     by_value
      - .address_space:  global
        .offset:         8
        .size:           8
        .value_kind:     global_buffer
      - .offset:         16
        .size:           8
        .value_kind:     by_value
      - .offset:         24
        .size:           8
        .value_kind:     by_value
      - .offset:         32
        .size:           8
        .value_kind:     by_value
      - .address_space:  global
        .offset:         40
        .size:           8
        .value_kind:     global_buffer
      - .offset:         48
        .size:           8
        .value_kind:     by_value
      - .offset:         56
        .size:           8
        .value_kind:     by_value
      - .offset:         64
        .size:           8
        .value_kind:     by_value
      - .address_space:  global
        .offset:         72
        .size:           8
        .value_kind:     global_buffer
      - .address_space:  global
        .offset:         80
        .size:           8
        .value_kind:     global_buffer
      - .address_space:  global
        .offset:         88
        .size:           8
        .value_kind:     global_buffer
      - .address_space:  global
        .offset:         96
        .size:           8
        .value_kind:     global_buffer
      - .address_space:  global
        .offset:         104
        .size:           8
        .value_kind:     global_buffer
      - .offset:         112
        .size:           4
        .value_kind:     hidden_block_count_x
      - .offset:         116
        .size:           4
        .value_kind:     hidden_block_count_y
      - .offset:         120
        .size:           4
        .value_kind:     hidden_block_count_z
      - .offset:         124
        .size:           2
        .value_kind:     hidden_group_size_x
      - .offset:         126
        .size:           2
        .value_kind:     hidden_group_size_y
      - .offset:         128
        .size:           2
        .value_kind:     hidden_group_size_z
      - .offset:         130
        .size:           2
        .value_kind:     hidden_remainder_x
      - .offset:         132
        .size:           2
        .value_kind:     hidden_remainder_y
      - .offset:         134
        .size:           2
        .value_kind:     hidden_remainder_z
      - .offset:         152
        .size:           8
        .value_kind:     hidden_global_offset_x
      - .offset:         160
        .size:           8
        .value_kind:     hidden_global_offset_y
      - .offset:         168
        .size:           8
        .value_kind:     hidden_global_offset_z
      - .offset:         176
        .size:           2
        .value_kind:     hidden_grid_dims
    .group_segment_fixed_size: 0
    .kernarg_segment_align: 8
    .kernarg_segment_size: 368
    .language:       OpenCL C
    .language_version:
      - 2
      - 0
    .max_flat_workgroup_size: 512
    .name:           _ZL27rocblas_rotm_kernel_regularILi512EKPdPKdEviPT0_lllS5_lllT1_S6_S6_S6_S6_
    .private_segment_fixed_size: 0
    .sgpr_count:     30
    .sgpr_spill_count: 0
    .symbol:         _ZL27rocblas_rotm_kernel_regularILi512EKPdPKdEviPT0_lllS5_lllT1_S6_S6_S6_S6_.kd
    .uniform_work_group_size: 1
    .uses_dynamic_stack: false
    .vgpr_count:     10
    .vgpr_spill_count: 0
    .wavefront_size: 64
amdhsa.target:   amdgcn-amd-amdhsa--gfx950
amdhsa.version:
  - 1
  - 2
...

	.end_amdgpu_metadata
